;; amdgpu-corpus repo=ROCm/rocFFT kind=compiled arch=gfx1201 opt=O3
	.text
	.amdgcn_target "amdgcn-amd-amdhsa--gfx1201"
	.amdhsa_code_object_version 6
	.protected	fft_rtc_fwd_len1430_factors_13_11_10_wgs_143_tpt_143_dp_ip_CI_unitstride_sbrr_R2C_dirReg ; -- Begin function fft_rtc_fwd_len1430_factors_13_11_10_wgs_143_tpt_143_dp_ip_CI_unitstride_sbrr_R2C_dirReg
	.globl	fft_rtc_fwd_len1430_factors_13_11_10_wgs_143_tpt_143_dp_ip_CI_unitstride_sbrr_R2C_dirReg
	.p2align	8
	.type	fft_rtc_fwd_len1430_factors_13_11_10_wgs_143_tpt_143_dp_ip_CI_unitstride_sbrr_R2C_dirReg,@function
fft_rtc_fwd_len1430_factors_13_11_10_wgs_143_tpt_143_dp_ip_CI_unitstride_sbrr_R2C_dirReg: ; @fft_rtc_fwd_len1430_factors_13_11_10_wgs_143_tpt_143_dp_ip_CI_unitstride_sbrr_R2C_dirReg
; %bb.0:
	s_clause 0x2
	s_load_b128 s[4:7], s[0:1], 0x0
	s_load_b64 s[8:9], s[0:1], 0x50
	s_load_b64 s[10:11], s[0:1], 0x18
	v_mul_u32_u24_e32 v1, 0x1cb, v0
	v_mov_b32_e32 v3, 0
	s_delay_alu instid0(VALU_DEP_2) | instskip(NEXT) | instid1(VALU_DEP_1)
	v_lshrrev_b32_e32 v1, 16, v1
	v_add_nc_u32_e32 v5, ttmp9, v1
	v_mov_b32_e32 v1, 0
	v_mov_b32_e32 v2, 0
	;; [unrolled: 1-line block ×3, first 2 shown]
	s_wait_kmcnt 0x0
	v_cmp_lt_u64_e64 s2, s[6:7], 2
	s_delay_alu instid0(VALU_DEP_1)
	s_and_b32 vcc_lo, exec_lo, s2
	s_cbranch_vccnz .LBB0_8
; %bb.1:
	s_load_b64 s[2:3], s[0:1], 0x10
	v_mov_b32_e32 v1, 0
	v_mov_b32_e32 v2, 0
	s_add_nc_u64 s[12:13], s[10:11], 8
	s_mov_b64 s[14:15], 1
	s_wait_kmcnt 0x0
	s_add_nc_u64 s[16:17], s[2:3], 8
	s_mov_b32 s3, 0
.LBB0_2:                                ; =>This Inner Loop Header: Depth=1
	s_load_b64 s[18:19], s[16:17], 0x0
                                        ; implicit-def: $vgpr7_vgpr8
	s_mov_b32 s2, exec_lo
	s_wait_kmcnt 0x0
	v_or_b32_e32 v4, s19, v6
	s_delay_alu instid0(VALU_DEP_1)
	v_cmpx_ne_u64_e32 0, v[3:4]
	s_wait_alu 0xfffe
	s_xor_b32 s20, exec_lo, s2
	s_cbranch_execz .LBB0_4
; %bb.3:                                ;   in Loop: Header=BB0_2 Depth=1
	s_cvt_f32_u32 s2, s18
	s_cvt_f32_u32 s21, s19
	s_sub_nc_u64 s[24:25], 0, s[18:19]
	s_wait_alu 0xfffe
	s_delay_alu instid0(SALU_CYCLE_1) | instskip(SKIP_1) | instid1(SALU_CYCLE_2)
	s_fmamk_f32 s2, s21, 0x4f800000, s2
	s_wait_alu 0xfffe
	v_s_rcp_f32 s2, s2
	s_delay_alu instid0(TRANS32_DEP_1) | instskip(SKIP_1) | instid1(SALU_CYCLE_2)
	s_mul_f32 s2, s2, 0x5f7ffffc
	s_wait_alu 0xfffe
	s_mul_f32 s21, s2, 0x2f800000
	s_wait_alu 0xfffe
	s_delay_alu instid0(SALU_CYCLE_2) | instskip(SKIP_1) | instid1(SALU_CYCLE_2)
	s_trunc_f32 s21, s21
	s_wait_alu 0xfffe
	s_fmamk_f32 s2, s21, 0xcf800000, s2
	s_cvt_u32_f32 s23, s21
	s_wait_alu 0xfffe
	s_delay_alu instid0(SALU_CYCLE_1) | instskip(SKIP_1) | instid1(SALU_CYCLE_2)
	s_cvt_u32_f32 s22, s2
	s_wait_alu 0xfffe
	s_mul_u64 s[26:27], s[24:25], s[22:23]
	s_wait_alu 0xfffe
	s_mul_hi_u32 s29, s22, s27
	s_mul_i32 s28, s22, s27
	s_mul_hi_u32 s2, s22, s26
	s_mul_i32 s30, s23, s26
	s_wait_alu 0xfffe
	s_add_nc_u64 s[28:29], s[2:3], s[28:29]
	s_mul_hi_u32 s21, s23, s26
	s_mul_hi_u32 s31, s23, s27
	s_add_co_u32 s2, s28, s30
	s_wait_alu 0xfffe
	s_add_co_ci_u32 s2, s29, s21
	s_mul_i32 s26, s23, s27
	s_add_co_ci_u32 s27, s31, 0
	s_wait_alu 0xfffe
	s_add_nc_u64 s[26:27], s[2:3], s[26:27]
	s_wait_alu 0xfffe
	v_add_co_u32 v4, s2, s22, s26
	s_delay_alu instid0(VALU_DEP_1) | instskip(SKIP_1) | instid1(VALU_DEP_1)
	s_cmp_lg_u32 s2, 0
	s_add_co_ci_u32 s23, s23, s27
	v_readfirstlane_b32 s22, v4
	s_wait_alu 0xfffe
	s_delay_alu instid0(VALU_DEP_1)
	s_mul_u64 s[24:25], s[24:25], s[22:23]
	s_wait_alu 0xfffe
	s_mul_hi_u32 s27, s22, s25
	s_mul_i32 s26, s22, s25
	s_mul_hi_u32 s2, s22, s24
	s_mul_i32 s28, s23, s24
	s_wait_alu 0xfffe
	s_add_nc_u64 s[26:27], s[2:3], s[26:27]
	s_mul_hi_u32 s21, s23, s24
	s_mul_hi_u32 s22, s23, s25
	s_wait_alu 0xfffe
	s_add_co_u32 s2, s26, s28
	s_add_co_ci_u32 s2, s27, s21
	s_mul_i32 s24, s23, s25
	s_add_co_ci_u32 s25, s22, 0
	s_wait_alu 0xfffe
	s_add_nc_u64 s[24:25], s[2:3], s[24:25]
	s_wait_alu 0xfffe
	v_add_co_u32 v4, s2, v4, s24
	s_delay_alu instid0(VALU_DEP_1) | instskip(SKIP_1) | instid1(VALU_DEP_1)
	s_cmp_lg_u32 s2, 0
	s_add_co_ci_u32 s2, s23, s25
	v_mul_hi_u32 v13, v5, v4
	s_wait_alu 0xfffe
	v_mad_co_u64_u32 v[7:8], null, v5, s2, 0
	v_mad_co_u64_u32 v[9:10], null, v6, v4, 0
	;; [unrolled: 1-line block ×3, first 2 shown]
	s_delay_alu instid0(VALU_DEP_3) | instskip(SKIP_1) | instid1(VALU_DEP_4)
	v_add_co_u32 v4, vcc_lo, v13, v7
	s_wait_alu 0xfffd
	v_add_co_ci_u32_e32 v7, vcc_lo, 0, v8, vcc_lo
	s_delay_alu instid0(VALU_DEP_2) | instskip(SKIP_1) | instid1(VALU_DEP_2)
	v_add_co_u32 v4, vcc_lo, v4, v9
	s_wait_alu 0xfffd
	v_add_co_ci_u32_e32 v4, vcc_lo, v7, v10, vcc_lo
	s_wait_alu 0xfffd
	v_add_co_ci_u32_e32 v7, vcc_lo, 0, v12, vcc_lo
	s_delay_alu instid0(VALU_DEP_2) | instskip(SKIP_1) | instid1(VALU_DEP_2)
	v_add_co_u32 v4, vcc_lo, v4, v11
	s_wait_alu 0xfffd
	v_add_co_ci_u32_e32 v9, vcc_lo, 0, v7, vcc_lo
	s_delay_alu instid0(VALU_DEP_2) | instskip(SKIP_1) | instid1(VALU_DEP_3)
	v_mul_lo_u32 v10, s19, v4
	v_mad_co_u64_u32 v[7:8], null, s18, v4, 0
	v_mul_lo_u32 v11, s18, v9
	s_delay_alu instid0(VALU_DEP_2) | instskip(NEXT) | instid1(VALU_DEP_2)
	v_sub_co_u32 v7, vcc_lo, v5, v7
	v_add3_u32 v8, v8, v11, v10
	s_delay_alu instid0(VALU_DEP_1) | instskip(SKIP_1) | instid1(VALU_DEP_1)
	v_sub_nc_u32_e32 v10, v6, v8
	s_wait_alu 0xfffd
	v_subrev_co_ci_u32_e64 v10, s2, s19, v10, vcc_lo
	v_add_co_u32 v11, s2, v4, 2
	s_wait_alu 0xf1ff
	v_add_co_ci_u32_e64 v12, s2, 0, v9, s2
	v_sub_co_u32 v13, s2, v7, s18
	v_sub_co_ci_u32_e32 v8, vcc_lo, v6, v8, vcc_lo
	s_wait_alu 0xf1ff
	v_subrev_co_ci_u32_e64 v10, s2, 0, v10, s2
	s_delay_alu instid0(VALU_DEP_3) | instskip(NEXT) | instid1(VALU_DEP_3)
	v_cmp_le_u32_e32 vcc_lo, s18, v13
	v_cmp_eq_u32_e64 s2, s19, v8
	s_wait_alu 0xfffd
	v_cndmask_b32_e64 v13, 0, -1, vcc_lo
	v_cmp_le_u32_e32 vcc_lo, s19, v10
	s_wait_alu 0xfffd
	v_cndmask_b32_e64 v14, 0, -1, vcc_lo
	v_cmp_le_u32_e32 vcc_lo, s18, v7
	;; [unrolled: 3-line block ×3, first 2 shown]
	s_wait_alu 0xfffd
	v_cndmask_b32_e64 v15, 0, -1, vcc_lo
	v_cmp_eq_u32_e32 vcc_lo, s19, v10
	s_wait_alu 0xf1ff
	s_delay_alu instid0(VALU_DEP_2)
	v_cndmask_b32_e64 v7, v15, v7, s2
	s_wait_alu 0xfffd
	v_cndmask_b32_e32 v10, v14, v13, vcc_lo
	v_add_co_u32 v13, vcc_lo, v4, 1
	s_wait_alu 0xfffd
	v_add_co_ci_u32_e32 v14, vcc_lo, 0, v9, vcc_lo
	s_delay_alu instid0(VALU_DEP_3) | instskip(SKIP_2) | instid1(VALU_DEP_3)
	v_cmp_ne_u32_e32 vcc_lo, 0, v10
	s_wait_alu 0xfffd
	v_cndmask_b32_e32 v10, v13, v11, vcc_lo
	v_cndmask_b32_e32 v8, v14, v12, vcc_lo
	v_cmp_ne_u32_e32 vcc_lo, 0, v7
	s_wait_alu 0xfffd
	s_delay_alu instid0(VALU_DEP_2)
	v_dual_cndmask_b32 v7, v4, v10 :: v_dual_cndmask_b32 v8, v9, v8
.LBB0_4:                                ;   in Loop: Header=BB0_2 Depth=1
	s_wait_alu 0xfffe
	s_and_not1_saveexec_b32 s2, s20
	s_cbranch_execz .LBB0_6
; %bb.5:                                ;   in Loop: Header=BB0_2 Depth=1
	v_cvt_f32_u32_e32 v4, s18
	s_sub_co_i32 s20, 0, s18
	s_delay_alu instid0(VALU_DEP_1) | instskip(NEXT) | instid1(TRANS32_DEP_1)
	v_rcp_iflag_f32_e32 v4, v4
	v_mul_f32_e32 v4, 0x4f7ffffe, v4
	s_delay_alu instid0(VALU_DEP_1) | instskip(SKIP_1) | instid1(VALU_DEP_1)
	v_cvt_u32_f32_e32 v4, v4
	s_wait_alu 0xfffe
	v_mul_lo_u32 v7, s20, v4
	s_delay_alu instid0(VALU_DEP_1) | instskip(NEXT) | instid1(VALU_DEP_1)
	v_mul_hi_u32 v7, v4, v7
	v_add_nc_u32_e32 v4, v4, v7
	s_delay_alu instid0(VALU_DEP_1) | instskip(NEXT) | instid1(VALU_DEP_1)
	v_mul_hi_u32 v4, v5, v4
	v_mul_lo_u32 v7, v4, s18
	v_add_nc_u32_e32 v8, 1, v4
	s_delay_alu instid0(VALU_DEP_2) | instskip(NEXT) | instid1(VALU_DEP_1)
	v_sub_nc_u32_e32 v7, v5, v7
	v_subrev_nc_u32_e32 v9, s18, v7
	v_cmp_le_u32_e32 vcc_lo, s18, v7
	s_wait_alu 0xfffd
	s_delay_alu instid0(VALU_DEP_2) | instskip(NEXT) | instid1(VALU_DEP_1)
	v_dual_cndmask_b32 v7, v7, v9 :: v_dual_cndmask_b32 v4, v4, v8
	v_cmp_le_u32_e32 vcc_lo, s18, v7
	s_delay_alu instid0(VALU_DEP_2) | instskip(SKIP_1) | instid1(VALU_DEP_1)
	v_add_nc_u32_e32 v8, 1, v4
	s_wait_alu 0xfffd
	v_dual_cndmask_b32 v7, v4, v8 :: v_dual_mov_b32 v8, v3
.LBB0_6:                                ;   in Loop: Header=BB0_2 Depth=1
	s_wait_alu 0xfffe
	s_or_b32 exec_lo, exec_lo, s2
	s_load_b64 s[20:21], s[12:13], 0x0
	s_delay_alu instid0(VALU_DEP_1)
	v_mul_lo_u32 v4, v8, s18
	v_mul_lo_u32 v11, v7, s19
	v_mad_co_u64_u32 v[9:10], null, v7, s18, 0
	s_add_nc_u64 s[14:15], s[14:15], 1
	s_add_nc_u64 s[12:13], s[12:13], 8
	s_wait_alu 0xfffe
	v_cmp_ge_u64_e64 s2, s[14:15], s[6:7]
	s_add_nc_u64 s[16:17], s[16:17], 8
	s_delay_alu instid0(VALU_DEP_2) | instskip(NEXT) | instid1(VALU_DEP_3)
	v_add3_u32 v4, v10, v11, v4
	v_sub_co_u32 v5, vcc_lo, v5, v9
	s_wait_alu 0xfffd
	s_delay_alu instid0(VALU_DEP_2) | instskip(SKIP_3) | instid1(VALU_DEP_2)
	v_sub_co_ci_u32_e32 v4, vcc_lo, v6, v4, vcc_lo
	s_and_b32 vcc_lo, exec_lo, s2
	s_wait_kmcnt 0x0
	v_mul_lo_u32 v6, s21, v5
	v_mul_lo_u32 v4, s20, v4
	v_mad_co_u64_u32 v[1:2], null, s20, v5, v[1:2]
	s_delay_alu instid0(VALU_DEP_1)
	v_add3_u32 v2, v6, v2, v4
	s_wait_alu 0xfffe
	s_cbranch_vccnz .LBB0_9
; %bb.7:                                ;   in Loop: Header=BB0_2 Depth=1
	v_dual_mov_b32 v5, v7 :: v_dual_mov_b32 v6, v8
	s_branch .LBB0_2
.LBB0_8:
	v_dual_mov_b32 v8, v6 :: v_dual_mov_b32 v7, v5
.LBB0_9:
	s_lshl_b64 s[2:3], s[6:7], 3
	v_mul_hi_u32 v3, 0x1ca4b31, v0
	s_wait_alu 0xfffe
	s_add_nc_u64 s[2:3], s[10:11], s[2:3]
	s_load_b64 s[2:3], s[2:3], 0x0
	s_load_b64 s[0:1], s[0:1], 0x20
	s_delay_alu instid0(VALU_DEP_1) | instskip(NEXT) | instid1(VALU_DEP_1)
	v_mul_u32_u24_e32 v3, 0x8f, v3
	v_sub_nc_u32_e32 v64, v0, v3
	s_delay_alu instid0(VALU_DEP_1)
	v_lshl_add_u32 v124, v64, 4, 0
	s_wait_kmcnt 0x0
	v_mul_lo_u32 v4, s2, v8
	v_mul_lo_u32 v5, s3, v7
	v_mad_co_u64_u32 v[1:2], null, s2, v7, v[1:2]
	v_cmp_gt_u64_e32 vcc_lo, s[0:1], v[7:8]
	s_delay_alu instid0(VALU_DEP_2) | instskip(NEXT) | instid1(VALU_DEP_1)
	v_add3_u32 v2, v5, v2, v4
	v_lshlrev_b64_e32 v[66:67], 4, v[1:2]
	s_and_saveexec_b32 s1, vcc_lo
	s_cbranch_execz .LBB0_11
; %bb.10:
	v_mov_b32_e32 v65, 0
	s_delay_alu instid0(VALU_DEP_2) | instskip(SKIP_2) | instid1(VALU_DEP_3)
	v_add_co_u32 v2, s0, s8, v66
	s_wait_alu 0xf1ff
	v_add_co_ci_u32_e64 v3, s0, s9, v67, s0
	v_lshlrev_b64_e32 v[0:1], 4, v[64:65]
	s_delay_alu instid0(VALU_DEP_1) | instskip(SKIP_1) | instid1(VALU_DEP_2)
	v_add_co_u32 v36, s0, v2, v0
	s_wait_alu 0xf1ff
	v_add_co_ci_u32_e64 v37, s0, v3, v1, s0
	s_clause 0x9
	global_load_b128 v[0:3], v[36:37], off
	global_load_b128 v[4:7], v[36:37], off offset:2288
	global_load_b128 v[8:11], v[36:37], off offset:4576
	;; [unrolled: 1-line block ×9, first 2 shown]
	s_wait_loadcnt 0x9
	ds_store_b128 v124, v[0:3]
	s_wait_loadcnt 0x8
	ds_store_b128 v124, v[4:7] offset:2288
	s_wait_loadcnt 0x7
	ds_store_b128 v124, v[8:11] offset:4576
	;; [unrolled: 2-line block ×9, first 2 shown]
.LBB0_11:
	s_wait_alu 0xfffe
	s_or_b32 exec_lo, exec_lo, s1
	global_wb scope:SCOPE_SE
	s_wait_dscnt 0x0
	s_barrier_signal -1
	s_barrier_wait -1
	global_inv scope:SCOPE_SE
	ds_load_b128 v[0:3], v124
	ds_load_b128 v[12:15], v124 offset:1760
	ds_load_b128 v[36:39], v124 offset:3520
	;; [unrolled: 1-line block ×5, first 2 shown]
	s_mov_b32 s2, 0xe00740e9
	s_mov_b32 s6, 0x4267c47c
	;; [unrolled: 1-line block ×17, first 2 shown]
	s_wait_dscnt 0x4
	v_add_f64_e32 v[4:5], v[0:1], v[12:13]
	v_add_f64_e32 v[6:7], v[2:3], v[14:15]
	s_mov_b32 s28, 0xb2365da1
	s_mov_b32 s26, 0xd0032e0c
	s_mov_b32 s22, 0x93053d00
	s_mov_b32 s11, 0x3fbedb7d
	s_mov_b32 s29, 0xbfd6b1d8
	s_mov_b32 s27, 0xbfe7f3cc
	s_mov_b32 s23, 0xbfef11f4
	s_mov_b32 s31, 0x3fe5384d
	s_mov_b32 s35, 0x3fefc445
	s_mov_b32 s37, 0x3fddbe06
	s_mov_b32 s41, 0x3fedeba7
	s_wait_alu 0xfffe
	s_mov_b32 s30, s20
	s_mov_b32 s34, s16
	;; [unrolled: 1-line block ×8, first 2 shown]
	s_wait_dscnt 0x3
	s_delay_alu instid0(VALU_DEP_2) | instskip(NEXT) | instid1(VALU_DEP_2)
	v_add_f64_e32 v[4:5], v[4:5], v[36:37]
	v_add_f64_e32 v[6:7], v[6:7], v[38:39]
	s_wait_dscnt 0x2
	s_delay_alu instid0(VALU_DEP_2) | instskip(NEXT) | instid1(VALU_DEP_2)
	v_add_f64_e32 v[4:5], v[4:5], v[32:33]
	v_add_f64_e32 v[6:7], v[6:7], v[34:35]
	;; [unrolled: 4-line block ×4, first 2 shown]
	ds_load_b128 v[28:31], v124 offset:10560
	ds_load_b128 v[4:7], v124 offset:21120
	;; [unrolled: 1-line block ×5, first 2 shown]
	s_wait_dscnt 0x3
	v_add_f64_e64 v[52:53], v[14:15], -v[6:7]
	v_add_f64_e32 v[14:15], v[14:15], v[6:7]
	v_add_f64_e64 v[54:55], v[12:13], -v[4:5]
	v_add_f64_e32 v[102:103], v[12:13], v[4:5]
	s_wait_dscnt 0x0
	v_add_f64_e64 v[110:111], v[42:43], -v[18:19]
	v_add_f64_e64 v[62:63], v[40:41], -v[16:17]
	v_add_f64_e32 v[70:71], v[40:41], v[16:17]
	v_add_f64_e32 v[12:13], v[42:43], v[18:19]
	v_add_f64_e32 v[60:61], v[24:25], v[48:49]
	v_add_f64_e64 v[68:69], v[24:25], -v[48:49]
	v_add_f64_e64 v[24:25], v[26:27], -v[50:51]
	v_add_f64_e32 v[56:57], v[8:9], v[28:29]
	v_add_f64_e32 v[58:59], v[10:11], v[30:31]
	ds_load_b128 v[8:11], v124 offset:19360
	ds_load_b128 v[20:23], v124 offset:17600
	global_wb scope:SCOPE_SE
	s_wait_dscnt 0x0
	s_barrier_signal -1
	s_barrier_wait -1
	global_inv scope:SCOPE_SE
	v_mul_f64_e32 v[80:81], s[6:7], v[52:53]
	v_mul_f64_e32 v[88:89], s[2:3], v[14:15]
	v_add_f64_e64 v[104:105], v[38:39], -v[10:11]
	v_add_f64_e32 v[38:39], v[38:39], v[10:11]
	v_mul_f64_e32 v[94:95], s[14:15], v[52:53]
	v_add_f64_e64 v[98:99], v[36:37], -v[8:9]
	v_add_f64_e64 v[74:75], v[32:33], -v[20:21]
	v_add_f64_e32 v[100:101], v[36:37], v[8:9]
	v_add_f64_e32 v[78:79], v[32:33], v[20:21]
	;; [unrolled: 1-line block ×3, first 2 shown]
	v_mul_f64_e32 v[96:97], s[12:13], v[14:15]
	v_add_f64_e32 v[26:27], v[30:31], v[46:47]
	v_mul_f64_e32 v[36:37], s[16:17], v[54:55]
	v_mul_f64_e32 v[120:121], s[20:21], v[52:53]
	;; [unrolled: 1-line block ×4, first 2 shown]
	v_add_f64_e64 v[106:107], v[34:35], -v[22:23]
	v_add_f64_e32 v[34:35], v[34:35], v[22:23]
	v_mul_f64_e32 v[118:119], s[36:37], v[62:63]
	v_add_f64_e32 v[90:91], v[56:57], v[44:45]
	v_add_f64_e32 v[92:93], v[58:59], v[46:47]
	;; [unrolled: 1-line block ×3, first 2 shown]
	v_add_f64_e64 v[58:59], v[28:29], -v[44:45]
	v_add_f64_e64 v[28:29], v[30:31], -v[46:47]
	v_mul_f64_e32 v[30:31], s[16:17], v[52:53]
	v_mul_f64_e32 v[44:45], s[24:25], v[52:53]
	;; [unrolled: 1-line block ×7, first 2 shown]
	v_fma_f64 v[127:128], v[102:103], s[2:3], -v[80:81]
	v_fma_f64 v[135:136], v[54:55], s[6:7], v[88:89]
	v_mul_f64_e32 v[84:85], s[14:15], v[104:105]
	v_mul_f64_e32 v[86:87], s[12:13], v[38:39]
	v_fma_f64 v[139:140], v[102:103], s[12:13], -v[94:95]
	v_mul_f64_e32 v[108:109], s[18:19], v[104:105]
	v_mul_f64_e32 v[112:113], s[18:19], v[98:99]
	;; [unrolled: 1-line block ×8, first 2 shown]
	v_fma_f64 v[145:146], v[54:55], s[14:15], v[96:97]
	v_mul_f64_e32 v[147:148], s[14:15], v[74:75]
	v_mul_f64_e32 v[151:152], s[36:37], v[98:99]
	;; [unrolled: 1-line block ×3, first 2 shown]
	v_fma_f64 v[161:162], v[14:15], s[10:11], v[36:37]
	v_fma_f64 v[36:37], v[14:15], s[10:11], -v[36:37]
	v_add_f64_e32 v[40:41], v[90:91], v[48:49]
	v_add_f64_e32 v[42:43], v[92:93], v[50:51]
	v_mul_f64_e32 v[90:91], s[24:25], v[104:105]
	v_mul_f64_e32 v[92:93], s[28:29], v[38:39]
	;; [unrolled: 1-line block ×3, first 2 shown]
	v_fma_f64 v[153:154], v[102:103], s[10:11], -v[30:31]
	v_fma_f64 v[30:31], v[102:103], s[10:11], v[30:31]
	v_fma_f64 v[165:166], v[14:15], s[28:29], v[46:47]
	v_fma_f64 v[46:47], v[14:15], s[28:29], -v[46:47]
	v_fma_f64 v[173:174], v[102:103], s[26:27], -v[120:121]
	v_fma_f64 v[175:176], v[14:15], s[26:27], v[125:126]
	v_fma_f64 v[120:121], v[102:103], s[26:27], v[120:121]
	v_fma_f64 v[125:126], v[14:15], s[26:27], -v[125:126]
	v_fma_f64 v[183:184], v[102:103], s[22:23], -v[52:53]
	v_fma_f64 v[185:186], v[14:15], s[22:23], v[149:150]
	v_fma_f64 v[187:188], v[102:103], s[22:23], v[52:53]
	v_mul_f64_e32 v[76:77], s[16:17], v[106:107]
	v_mul_f64_e32 v[82:83], s[10:11], v[34:35]
	;; [unrolled: 1-line block ×3, first 2 shown]
	v_add_f64_e32 v[127:128], v[0:1], v[127:128]
	v_add_f64_e32 v[135:136], v[2:3], v[135:136]
	v_fma_f64 v[157:158], v[100:101], s[12:13], -v[84:85]
	v_fma_f64 v[159:160], v[98:99], s[14:15], v[86:87]
	v_add_f64_e32 v[139:140], v[0:1], v[139:140]
	v_mul_f64_e32 v[50:51], s[22:23], v[34:35]
	v_mul_f64_e32 v[116:117], s[40:41], v[106:107]
	;; [unrolled: 1-line block ×3, first 2 shown]
	v_fma_f64 v[167:168], v[100:101], s[22:23], -v[108:109]
	v_fma_f64 v[169:170], v[38:39], s[22:23], v[112:113]
	v_fma_f64 v[171:172], v[34:35], s[28:29], v[114:115]
	;; [unrolled: 1-line block ×3, first 2 shown]
	v_fma_f64 v[112:113], v[38:39], s[22:23], -v[112:113]
	v_fma_f64 v[114:115], v[34:35], s[28:29], -v[114:115]
	;; [unrolled: 1-line block ×3, first 2 shown]
	v_fma_f64 v[179:180], v[38:39], s[26:27], v[129:130]
	v_fma_f64 v[181:182], v[34:35], s[2:3], v[133:134]
	;; [unrolled: 1-line block ×3, first 2 shown]
	v_add_f64_e32 v[145:146], v[2:3], v[145:146]
	v_add_f64_e32 v[16:17], v[40:41], v[16:17]
	v_add_f64_e32 v[18:19], v[42:43], v[18:19]
	v_fma_f64 v[40:41], v[100:101], s[28:29], -v[90:91]
	v_fma_f64 v[42:43], v[102:103], s[28:29], -v[44:45]
	v_fma_f64 v[44:45], v[102:103], s[28:29], v[44:45]
	v_fma_f64 v[163:164], v[98:99], s[24:25], v[92:93]
	v_fma_f64 v[129:130], v[38:39], s[26:27], -v[129:130]
	v_fma_f64 v[133:134], v[34:35], s[2:3], -v[133:134]
	v_add_f64_e32 v[153:154], v[0:1], v[153:154]
	v_fma_f64 v[189:190], v[100:101], s[10:11], -v[141:142]
	v_fma_f64 v[14:15], v[14:15], s[22:23], -v[149:150]
	v_fma_f64 v[149:150], v[38:39], s[10:11], v[143:144]
	v_add_f64_e32 v[161:162], v[2:3], v[161:162]
	v_add_f64_e32 v[30:31], v[0:1], v[30:31]
	;; [unrolled: 1-line block ×5, first 2 shown]
	v_fma_f64 v[141:142], v[100:101], s[10:11], v[141:142]
	v_add_f64_e32 v[120:121], v[0:1], v[120:121]
	v_add_f64_e32 v[125:126], v[2:3], v[125:126]
	;; [unrolled: 1-line block ×4, first 2 shown]
	s_wait_alu 0xfffe
	v_mul_f64_e32 v[157:158], s[0:1], v[62:63]
	v_add_f64_e32 v[135:136], v[159:160], v[135:136]
	v_add_f64_e32 v[159:160], v[0:1], v[183:184]
	;; [unrolled: 1-line block ×3, first 2 shown]
	v_fma_f64 v[185:186], v[100:101], s[2:3], v[104:105]
	v_mul_f64_e32 v[52:53], s[28:29], v[12:13]
	v_add_f64_e32 v[16:17], v[16:17], v[20:21]
	v_add_f64_e32 v[18:19], v[18:19], v[22:23]
	v_fma_f64 v[20:21], v[34:35], s[12:13], v[147:148]
	v_add_f64_e32 v[22:23], v[0:1], v[42:43]
	v_fma_f64 v[42:43], v[38:39], s[10:11], -v[143:144]
	v_add_f64_e32 v[143:144], v[2:3], v[165:166]
	v_fma_f64 v[147:148], v[34:35], s[12:13], -v[147:148]
	v_add_f64_e32 v[44:45], v[0:1], v[44:45]
	v_fma_f64 v[165:166], v[38:39], s[2:3], v[151:152]
	v_fma_f64 v[38:39], v[38:39], s[2:3], -v[151:152]
	v_fma_f64 v[151:152], v[34:35], s[26:27], v[155:156]
	v_fma_f64 v[34:35], v[34:35], s[26:27], -v[155:156]
	v_add_f64_e32 v[155:156], v[0:1], v[173:174]
	v_mul_f64_e32 v[173:174], s[38:39], v[62:63]
	v_add_f64_e32 v[40:41], v[40:41], v[139:140]
	v_fma_f64 v[139:140], v[100:101], s[2:3], -v[104:105]
	v_add_f64_e32 v[145:146], v[163:164], v[145:146]
	v_mul_f64_e32 v[163:164], s[14:15], v[106:107]
	v_add_f64_e32 v[153:154], v[167:168], v[153:154]
	v_mul_f64_e32 v[104:105], s[30:31], v[110:111]
	v_mul_f64_e32 v[167:168], s[20:21], v[106:107]
	v_add_f64_e32 v[14:15], v[2:3], v[14:15]
	v_add_f64_e32 v[161:162], v[169:170], v[161:162]
	v_fma_f64 v[169:170], v[78:79], s[10:11], -v[76:77]
	v_add_f64_e32 v[30:31], v[108:109], v[30:31]
	v_fma_f64 v[108:109], v[74:75], s[16:17], v[82:83]
	v_add_f64_e32 v[36:37], v[112:113], v[36:37]
	v_fma_f64 v[112:113], v[78:79], s[22:23], -v[48:49]
	v_add_f64_e32 v[46:47], v[129:130], v[46:47]
	v_fma_f64 v[129:130], v[78:79], s[2:3], -v[131:132]
	v_add_f64_e32 v[149:150], v[149:150], v[175:176]
	v_add_f64_e32 v[120:121], v[141:142], v[120:121]
	v_fma_f64 v[141:142], v[12:13], s[12:13], v[157:158]
	v_fma_f64 v[157:158], v[12:13], s[12:13], -v[157:158]
	v_mul_f64_e32 v[106:107], s[26:27], v[12:13]
	v_add_f64_e32 v[22:23], v[177:178], v[22:23]
	v_fma_f64 v[177:178], v[74:75], s[18:19], v[50:51]
	v_add_f64_e32 v[143:144], v[179:180], v[143:144]
	v_fma_f64 v[179:180], v[78:79], s[28:29], -v[116:117]
	v_add_f64_e32 v[44:45], v[122:123], v[44:45]
	v_fma_f64 v[122:123], v[12:13], s[2:3], v[118:119]
	v_fma_f64 v[116:117], v[78:79], s[28:29], v[116:117]
	v_fma_f64 v[118:119], v[12:13], s[2:3], -v[118:119]
	v_add_f64_e32 v[42:43], v[42:43], v[125:126]
	v_add_f64_e32 v[155:156], v[189:190], v[155:156]
	v_fma_f64 v[189:190], v[12:13], s[10:11], v[137:138]
	v_fma_f64 v[137:138], v[12:13], s[10:11], -v[137:138]
	v_fma_f64 v[175:176], v[12:13], s[22:23], v[173:174]
	v_fma_f64 v[173:174], v[12:13], s[22:23], -v[173:174]
	v_fma_f64 v[12:13], v[78:79], s[2:3], v[131:132]
	v_mul_f64_e32 v[125:126], s[36:37], v[110:111]
	v_add_f64_e32 v[131:132], v[139:140], v[159:160]
	v_add_f64_e32 v[159:160], v[165:166], v[183:184]
	;; [unrolled: 1-line block ×3, first 2 shown]
	v_mul_f64_e32 v[185:186], s[16:17], v[110:111]
	v_fma_f64 v[139:140], v[78:79], s[12:13], -v[163:164]
	v_mul_f64_e32 v[165:166], s[14:15], v[68:69]
	v_fma_f64 v[163:164], v[78:79], s[12:13], v[163:164]
	v_add_f64_e32 v[14:15], v[38:39], v[14:15]
	v_mul_f64_e32 v[38:39], s[38:39], v[68:69]
	v_add_f64_e32 v[127:128], v[169:170], v[127:128]
	v_mul_f64_e32 v[169:170], s[36:37], v[68:69]
	v_add_f64_e32 v[135:136], v[108:109], v[135:136]
	v_fma_f64 v[187:188], v[78:79], s[26:27], -v[167:168]
	v_add_f64_e32 v[40:41], v[112:113], v[40:41]
	v_fma_f64 v[167:168], v[78:79], s[26:27], v[167:168]
	v_add_f64_e32 v[161:162], v[171:172], v[161:162]
	v_fma_f64 v[171:172], v[70:71], s[28:29], -v[72:73]
	v_fma_f64 v[193:194], v[70:71], s[26:27], -v[104:105]
	v_mul_f64_e32 v[112:113], s[34:35], v[24:25]
	v_add_f64_e32 v[20:21], v[20:21], v[149:150]
	v_mul_f64_e32 v[108:109], s[20:21], v[24:25]
	v_add_f64_e32 v[36:37], v[114:115], v[36:37]
	v_add_f64_e32 v[22:23], v[129:130], v[22:23]
	;; [unrolled: 1-line block ×3, first 2 shown]
	v_mul_f64_e32 v[177:178], s[38:39], v[110:111]
	v_add_f64_e32 v[153:154], v[179:180], v[153:154]
	v_mul_f64_e32 v[179:180], s[0:1], v[110:111]
	v_mul_f64_e32 v[110:111], s[26:27], v[32:33]
	v_add_f64_e32 v[30:31], v[116:117], v[30:31]
	v_fma_f64 v[116:117], v[62:63], s[24:25], v[52:53]
	v_add_f64_e32 v[129:130], v[181:182], v[143:144]
	v_fma_f64 v[143:144], v[62:63], s[30:31], v[106:107]
	;; [unrolled: 2-line block ×3, first 2 shown]
	v_mul_f64_e32 v[114:115], s[10:11], v[32:33]
	v_add_f64_e32 v[12:13], v[12:13], v[44:45]
	v_add_f64_e32 v[44:45], v[133:134], v[46:47]
	v_fma_f64 v[46:47], v[70:71], s[2:3], -v[125:126]
	v_fma_f64 v[125:126], v[70:71], s[2:3], v[125:126]
	v_fma_f64 v[149:150], v[70:71], s[10:11], -v[185:186]
	v_add_f64_e32 v[133:134], v[139:140], v[155:156]
	v_fma_f64 v[139:140], v[32:33], s[12:13], v[165:166]
	v_fma_f64 v[155:156], v[32:33], s[12:13], -v[165:166]
	v_add_f64_e32 v[163:164], v[163:164], v[120:121]
	v_fma_f64 v[165:166], v[32:33], s[22:23], v[38:39]
	v_fma_f64 v[120:121], v[70:71], s[10:11], v[185:186]
	v_fma_f64 v[38:39], v[32:33], s[22:23], -v[38:39]
	v_fma_f64 v[147:148], v[32:33], s[2:3], v[169:170]
	v_fma_f64 v[169:170], v[32:33], s[2:3], -v[169:170]
	v_add_f64_e32 v[131:132], v[187:188], v[131:132]
	v_fma_f64 v[185:186], v[32:33], s[28:29], -v[191:192]
	v_add_f64_e32 v[32:33], v[151:152], v[159:160]
	v_add_f64_e32 v[159:160], v[167:168], v[183:184]
	v_mul_f64_e32 v[167:168], s[14:15], v[24:25]
	v_add_f64_e32 v[14:15], v[34:35], v[14:15]
	v_mul_f64_e32 v[34:35], s[20:21], v[58:59]
	;; [unrolled: 2-line block ×4, first 2 shown]
	v_fma_f64 v[151:152], v[70:71], s[22:23], -v[177:178]
	v_fma_f64 v[177:178], v[70:71], s[22:23], v[177:178]
	v_fma_f64 v[183:184], v[70:71], s[12:13], -v[179:180]
	v_fma_f64 v[179:180], v[70:71], s[12:13], v[179:180]
	v_add_f64_e32 v[161:162], v[122:123], v[161:162]
	v_add_f64_e32 v[135:136], v[116:117], v[135:136]
	v_add_f64_e32 v[129:130], v[189:190], v[129:130]
	v_add_f64_e32 v[143:144], v[143:144], v[145:146]
	v_mul_f64_e32 v[145:146], s[34:35], v[58:59]
	v_mul_f64_e32 v[189:190], s[36:37], v[24:25]
	v_fma_f64 v[191:192], v[60:61], s[26:27], -v[108:109]
	v_add_f64_e32 v[36:37], v[118:119], v[36:37]
	v_mul_f64_e32 v[116:117], s[18:19], v[28:29]
	v_fma_f64 v[193:194], v[68:69], s[34:35], v[114:115]
	v_add_f64_e32 v[46:47], v[46:47], v[153:154]
	v_mul_f64_e32 v[153:154], s[38:39], v[24:25]
	v_add_f64_e32 v[30:31], v[125:126], v[30:31]
	v_fma_f64 v[125:126], v[68:69], s[20:21], v[110:111]
	v_add_f64_e32 v[22:23], v[149:150], v[22:23]
	v_fma_f64 v[149:150], v[60:61], s[10:11], -v[112:113]
	v_mul_f64_e32 v[24:25], s[24:25], v[24:25]
	v_add_f64_e32 v[44:45], v[137:138], v[44:45]
	v_mul_f64_e32 v[118:119], s[22:23], v[26:27]
	v_add_f64_e32 v[12:13], v[120:121], v[12:13]
	;; [unrolled: 2-line block ×3, first 2 shown]
	v_add_f64_e32 v[42:43], v[173:174], v[42:43]
	v_mul_f64_e32 v[122:123], s[2:3], v[26:27]
	v_add_f64_e32 v[32:33], v[141:142], v[32:33]
	v_fma_f64 v[137:138], v[60:61], s[12:13], -v[167:168]
	v_fma_f64 v[167:168], v[60:61], s[12:13], v[167:168]
	v_add_f64_e32 v[14:15], v[157:158], v[14:15]
	v_mul_f64_e32 v[157:158], s[20:21], v[28:29]
	v_fma_f64 v[173:174], v[26:27], s[12:13], v[171:172]
	v_fma_f64 v[171:172], v[26:27], s[12:13], -v[171:172]
	v_fma_f64 v[175:176], v[26:27], s[28:29], v[187:188]
	v_add_f64_e32 v[133:134], v[151:152], v[133:134]
	v_add_f64_e32 v[151:152], v[177:178], v[163:164]
	v_fma_f64 v[163:164], v[26:27], s[26:27], v[34:35]
	v_fma_f64 v[34:35], v[26:27], s[26:27], -v[34:35]
	v_add_f64_e32 v[131:132], v[183:184], v[131:132]
	v_fma_f64 v[177:178], v[26:27], s[28:29], -v[187:188]
	v_add_f64_e32 v[139:140], v[139:140], v[161:162]
	v_add_f64_e32 v[129:130], v[165:166], v[129:130]
	v_fma_f64 v[141:142], v[26:27], s[10:11], v[145:146]
	v_fma_f64 v[145:146], v[26:27], s[10:11], -v[145:146]
	v_add_f64_e32 v[26:27], v[179:180], v[159:160]
	v_mul_f64_e32 v[179:180], s[0:1], v[28:29]
	v_fma_f64 v[183:184], v[60:61], s[2:3], v[189:190]
	v_add_f64_e32 v[127:128], v[191:192], v[127:128]
	v_add_f64_e32 v[143:144], v[193:194], v[143:144]
	v_fma_f64 v[159:160], v[60:61], s[22:23], -v[153:154]
	v_fma_f64 v[153:154], v[60:61], s[22:23], v[153:154]
	v_add_f64_e32 v[125:126], v[125:126], v[135:136]
	v_mul_f64_e32 v[135:136], s[24:25], v[28:29]
	v_mul_f64_e32 v[28:29], s[34:35], v[28:29]
	v_add_f64_e32 v[40:41], v[149:150], v[40:41]
	v_fma_f64 v[149:150], v[60:61], s[2:3], -v[189:190]
	v_fma_f64 v[187:188], v[60:61], s[28:29], -v[24:25]
	v_fma_f64 v[24:25], v[60:61], s[28:29], v[24:25]
	v_fma_f64 v[161:162], v[58:59], s[18:19], v[118:119]
	v_add_f64_e32 v[36:37], v[155:156], v[36:37]
	v_add_f64_e32 v[38:39], v[38:39], v[44:45]
	v_fma_f64 v[155:156], v[58:59], s[36:37], v[122:123]
	v_add_f64_e32 v[147:148], v[147:148], v[20:21]
	s_mov_b32 s1, exec_lo
	v_add_f64_e32 v[137:138], v[137:138], v[46:47]
	v_fma_f64 v[46:47], v[56:57], s[22:23], -v[116:117]
	v_add_f64_e32 v[30:31], v[167:168], v[30:31]
	v_fma_f64 v[167:168], v[56:57], s[2:3], -v[120:121]
	;; [unrolled: 2-line block ×3, first 2 shown]
	v_fma_f64 v[179:180], v[56:57], s[12:13], v[179:180]
	v_add_f64_e32 v[22:23], v[159:160], v[22:23]
	v_fma_f64 v[159:160], v[56:57], s[26:27], -v[157:158]
	v_fma_f64 v[157:158], v[56:57], s[26:27], v[157:158]
	v_add_f64_e32 v[12:13], v[153:154], v[12:13]
	v_fma_f64 v[153:154], v[56:57], s[28:29], -v[135:136]
	v_fma_f64 v[135:136], v[56:57], s[28:29], v[135:136]
	v_fma_f64 v[189:190], v[56:57], s[10:11], -v[28:29]
	v_fma_f64 v[28:29], v[56:57], s[10:11], v[28:29]
	v_add_f64_e32 v[133:134], v[149:150], v[133:134]
	v_add_f64_e32 v[149:150], v[183:184], v[151:152]
	;; [unrolled: 1-line block ×30, first 2 shown]
	v_cmpx_gt_u32_e32 0x6e, v64
	s_cbranch_execz .LBB0_13
; %bb.12:
	v_mul_f64_e32 v[125:126], s[14:15], v[54:55]
	v_mul_f64_e32 v[127:128], s[12:13], v[102:103]
	;; [unrolled: 1-line block ×8, first 2 shown]
	v_add_f64_e64 v[96:97], v[96:97], -v[125:126]
	v_add_f64_e32 v[94:95], v[127:128], v[94:95]
	v_add_f64_e64 v[54:55], v[88:89], -v[54:55]
	v_add_f64_e32 v[80:81], v[102:103], v[80:81]
	v_mul_f64_e32 v[88:89], s[10:11], v[78:79]
	v_mul_f64_e32 v[102:103], s[16:17], v[74:75]
	;; [unrolled: 1-line block ×4, first 2 shown]
	v_add_f64_e64 v[92:93], v[92:93], -v[129:130]
	v_add_f64_e32 v[90:91], v[131:132], v[90:91]
	v_add_f64_e64 v[86:87], v[86:87], -v[98:99]
	v_add_f64_e32 v[84:85], v[100:101], v[84:85]
	v_add_f64_e32 v[96:97], v[2:3], v[96:97]
	;; [unrolled: 1-line block ×5, first 2 shown]
	v_mul_f64_e32 v[54:55], s[28:29], v[70:71]
	v_mul_f64_e32 v[80:81], s[24:25], v[62:63]
	;; [unrolled: 1-line block ×4, first 2 shown]
	v_add_f64_e64 v[50:51], v[50:51], -v[74:75]
	v_add_f64_e32 v[48:49], v[78:79], v[48:49]
	v_add_f64_e64 v[74:75], v[82:83], -v[102:103]
	v_add_f64_e32 v[76:77], v[88:89], v[76:77]
	v_add_f64_e32 v[78:79], v[92:93], v[96:97]
	;; [unrolled: 1-line block ×5, first 2 shown]
	v_mul_f64_e32 v[84:85], s[26:27], v[60:61]
	v_mul_f64_e32 v[86:87], s[20:21], v[68:69]
	;; [unrolled: 1-line block ×4, first 2 shown]
	v_add_f64_e64 v[62:63], v[106:107], -v[62:63]
	v_add_f64_e32 v[70:71], v[70:71], v[104:105]
	v_add_f64_e64 v[52:53], v[52:53], -v[80:81]
	v_add_f64_e32 v[54:55], v[54:55], v[72:73]
	v_mul_f64_e32 v[72:73], s[22:23], v[56:57]
	v_mul_f64_e32 v[56:57], s[2:3], v[56:57]
	v_add_f64_e32 v[50:51], v[50:51], v[78:79]
	v_add_f64_e32 v[48:49], v[48:49], v[82:83]
	;; [unrolled: 1-line block ×4, first 2 shown]
	v_mul_f64_e32 v[74:75], s[18:19], v[58:59]
	v_mul_f64_e32 v[58:59], s[36:37], v[58:59]
	v_add_f64_e32 v[60:61], v[60:61], v[112:113]
	v_add_f64_e64 v[68:69], v[114:115], -v[68:69]
	v_add_f64_e64 v[76:77], v[110:111], -v[86:87]
	v_add_f64_e32 v[78:79], v[84:85], v[108:109]
	v_add_f64_e32 v[50:51], v[62:63], v[50:51]
	;; [unrolled: 1-line block ×6, first 2 shown]
	v_add_f64_e64 v[52:53], v[122:123], -v[58:59]
	v_add_f64_e64 v[56:57], v[118:119], -v[74:75]
	v_add_f64_e32 v[58:59], v[72:73], v[116:117]
	v_add_f64_e32 v[50:51], v[68:69], v[50:51]
	;; [unrolled: 1-line block ×5, first 2 shown]
	s_delay_alu instid0(VALU_DEP_4) | instskip(NEXT) | instid1(VALU_DEP_4)
	v_add_f64_e32 v[2:3], v[52:53], v[50:51]
	v_add_f64_e32 v[0:1], v[54:55], v[48:49]
	s_delay_alu instid0(VALU_DEP_4) | instskip(NEXT) | instid1(VALU_DEP_4)
	v_add_f64_e32 v[50:51], v[56:57], v[60:61]
	v_add_f64_e32 v[48:49], v[58:59], v[62:63]
	v_mad_u32_u24 v52, 0xc0, v64, v124
	ds_store_b128 v52, v[4:7]
	ds_store_b128 v52, v[44:47] offset:16
	ds_store_b128 v52, v[8:11] offset:32
	;; [unrolled: 1-line block ×12, first 2 shown]
.LBB0_13:
	s_wait_alu 0xfffe
	s_or_b32 exec_lo, exec_lo, s1
	v_cmp_gt_u32_e64 s0, 0x82, v64
	global_wb scope:SCOPE_SE
	s_wait_dscnt 0x0
	s_barrier_signal -1
	s_barrier_wait -1
	global_inv scope:SCOPE_SE
	s_and_saveexec_b32 s1, s0
	s_cbranch_execz .LBB0_15
; %bb.14:
	ds_load_b128 v[4:7], v124
	ds_load_b128 v[44:47], v124 offset:2080
	ds_load_b128 v[8:11], v124 offset:4160
	;; [unrolled: 1-line block ×10, first 2 shown]
.LBB0_15:
	s_wait_alu 0xfffe
	s_or_b32 exec_lo, exec_lo, s1
	global_wb scope:SCOPE_SE
	s_wait_dscnt 0x0
	s_barrier_signal -1
	s_barrier_wait -1
	global_inv scope:SCOPE_SE
	s_and_saveexec_b32 s33, s0
	s_cbranch_execz .LBB0_17
; %bb.16:
	v_and_b32_e32 v0, 0xff, v64
	s_mov_b32 s12, 0x640f44db
	s_mov_b32 s14, 0x43842ef
	;; [unrolled: 1-line block ×4, first 2 shown]
	v_mul_lo_u16 v0, 0x4f, v0
	s_mov_b32 s0, 0x7f775887
	s_mov_b32 s10, 0xbb3a28a1
	;; [unrolled: 1-line block ×4, first 2 shown]
	v_lshrrev_b16 v65, 10, v0
	s_mov_b32 s20, 0xfd768dbf
	s_mov_b32 s13, 0xbfc2375f
	;; [unrolled: 1-line block ×4, first 2 shown]
	v_mul_lo_u16 v0, v65, 13
	s_mov_b32 s7, 0xbfed1bb4
	s_mov_b32 s1, 0xbfe4f49e
	;; [unrolled: 1-line block ×4, first 2 shown]
	v_sub_nc_u16 v0, v64, v0
	s_mov_b32 s19, 0xbfeeb42a
	s_mov_b32 s21, 0x3fd207e7
	;; [unrolled: 1-line block ×4, first 2 shown]
	v_and_b32_e32 v68, 0xff, v0
	s_mov_b32 s25, 0xbfd207e7
	s_wait_alu 0xfffe
	s_mov_b32 s34, s14
	s_mov_b32 s28, s10
	;; [unrolled: 1-line block ×3, first 2 shown]
	v_mul_u32_u24_e32 v0, 10, v68
	s_mov_b32 s16, 0x8764f0ba
	s_mov_b32 s17, 0x3feaeb8c
	s_mov_b32 s31, 0x3fed1bb4
	s_mov_b32 s27, 0x3fe14ced
	v_lshlrev_b32_e32 v85, 4, v0
	s_mov_b32 s30, s6
	s_mov_b32 s26, s22
	s_clause 0x9
	global_load_b128 v[69:72], v85, s[4:5]
	global_load_b128 v[0:3], v85, s[4:5] offset:32
	global_load_b128 v[48:51], v85, s[4:5] offset:112
	;; [unrolled: 1-line block ×9, first 2 shown]
	s_wait_loadcnt 0x9
	v_mul_f64_e32 v[89:90], v[44:45], v[71:72]
	v_mul_f64_e32 v[71:72], v[46:47], v[71:72]
	s_wait_loadcnt 0x8
	v_mul_f64_e32 v[91:92], v[16:17], v[2:3]
	s_wait_loadcnt 0x6
	;; [unrolled: 2-line block ×3, first 2 shown]
	v_mul_f64_e32 v[97:98], v[36:37], v[75:76]
	v_mul_f64_e32 v[54:55], v[10:11], v[54:55]
	s_wait_loadcnt 0x4
	v_mul_f64_e32 v[99:100], v[40:41], v[79:80]
	v_mul_f64_e32 v[93:94], v[32:33], v[50:51]
	;; [unrolled: 1-line block ×4, first 2 shown]
	s_wait_loadcnt 0x0
	v_mul_f64_e32 v[101:102], v[28:29], v[87:88]
	v_mul_f64_e32 v[87:88], v[30:31], v[87:88]
	v_fma_f64 v[46:47], v[46:47], v[69:70], v[89:90]
	v_fma_f64 v[44:45], v[44:45], v[69:70], -v[71:72]
	v_mul_f64_e32 v[71:72], v[38:39], v[75:76]
	v_mul_f64_e32 v[75:76], v[42:43], v[79:80]
	v_fma_f64 v[18:19], v[18:19], v[0:1], v[91:92]
	v_fma_f64 v[10:11], v[10:11], v[52:53], v[95:96]
	;; [unrolled: 1-line block ×3, first 2 shown]
	v_fma_f64 v[8:9], v[8:9], v[52:53], -v[54:55]
	v_fma_f64 v[42:43], v[42:43], v[77:78], v[99:100]
	v_mul_f64_e32 v[69:70], v[12:13], v[62:63]
	v_mul_f64_e32 v[79:80], v[24:25], v[58:59]
	;; [unrolled: 1-line block ×6, first 2 shown]
	v_fma_f64 v[0:1], v[16:17], v[0:1], -v[2:3]
	v_fma_f64 v[2:3], v[32:33], v[48:49], -v[50:51]
	v_fma_f64 v[34:35], v[34:35], v[48:49], v[93:94]
	v_fma_f64 v[28:29], v[28:29], v[85:86], -v[87:88]
	v_fma_f64 v[30:31], v[30:31], v[85:86], v[101:102]
	v_add_f64_e32 v[91:92], v[6:7], v[46:47]
	v_add_f64_e32 v[52:53], v[4:5], v[44:45]
	v_fma_f64 v[16:17], v[36:37], v[73:74], -v[71:72]
	v_fma_f64 v[32:33], v[40:41], v[77:78], -v[75:76]
	v_add_f64_e32 v[40:41], v[10:11], v[38:39]
	v_add_f64_e64 v[54:55], v[10:11], -v[38:39]
	v_add_f64_e32 v[48:49], v[46:47], v[42:43]
	v_add_f64_e64 v[46:47], v[46:47], -v[42:43]
	v_fma_f64 v[26:27], v[26:27], v[56:57], v[79:80]
	v_fma_f64 v[22:23], v[22:23], v[81:82], v[89:90]
	v_fma_f64 v[20:21], v[20:21], v[81:82], -v[83:84]
	v_fma_f64 v[12:13], v[12:13], v[60:61], -v[62:63]
	;; [unrolled: 1-line block ×3, first 2 shown]
	v_fma_f64 v[14:15], v[14:15], v[60:61], v[69:70]
	v_add_f64_e64 v[56:57], v[0:1], -v[2:3]
	v_add_f64_e32 v[62:63], v[0:1], v[2:3]
	v_add_f64_e32 v[36:37], v[18:19], v[34:35]
	v_add_f64_e64 v[50:51], v[18:19], -v[34:35]
	v_add_f64_e32 v[10:11], v[91:92], v[10:11]
	v_add_f64_e32 v[52:53], v[52:53], v[8:9]
	v_add_f64_e64 v[58:59], v[8:9], -v[16:17]
	v_add_f64_e64 v[60:61], v[44:45], -v[32:33]
	v_add_f64_e32 v[44:45], v[44:45], v[32:33]
	v_add_f64_e32 v[8:9], v[8:9], v[16:17]
	s_wait_alu 0xfffe
	v_mul_f64_e32 v[87:88], s[16:17], v[40:41]
	v_mul_f64_e32 v[93:94], s[26:27], v[54:55]
	v_mul_f64_e32 v[89:90], s[18:19], v[48:49]
	v_mul_f64_e32 v[95:96], s[24:25], v[46:47]
	v_mul_f64_e32 v[99:100], s[0:1], v[48:49]
	v_mul_f64_e32 v[103:104], s[28:29], v[46:47]
	v_mul_f64_e32 v[107:108], s[12:13], v[48:49]
	v_mul_f64_e32 v[109:110], s[34:35], v[46:47]
	v_mul_f64_e32 v[115:116], s[2:3], v[48:49]
	v_mul_f64_e32 v[117:118], s[6:7], v[46:47]
	v_mul_f64_e32 v[46:47], s[22:23], v[46:47]
	v_mul_f64_e32 v[48:49], s[16:17], v[48:49]
	v_add_f64_e64 v[73:74], v[20:21], -v[28:29]
	v_add_f64_e32 v[79:80], v[20:21], v[28:29]
	v_mul_f64_e32 v[111:112], s[18:19], v[40:41]
	v_mul_f64_e32 v[125:126], s[0:1], v[40:41]
	;; [unrolled: 1-line block ×4, first 2 shown]
	v_add_f64_e32 v[71:72], v[22:23], v[30:31]
	v_add_f64_e64 v[75:76], v[22:23], -v[30:31]
	v_mul_f64_e32 v[85:86], s[0:1], v[36:37]
	v_mul_f64_e32 v[91:92], s[28:29], v[50:51]
	;; [unrolled: 1-line block ×8, first 2 shown]
	v_add_f64_e32 v[69:70], v[14:15], v[26:27]
	v_add_f64_e64 v[77:78], v[14:15], -v[26:27]
	v_add_f64_e64 v[81:82], v[12:13], -v[24:25]
	v_add_f64_e32 v[83:84], v[12:13], v[24:25]
	v_add_f64_e32 v[10:11], v[10:11], v[18:19]
	;; [unrolled: 1-line block ×3, first 2 shown]
	v_mul_f64_e32 v[18:19], s[12:13], v[40:41]
	v_mul_f64_e32 v[52:53], s[14:15], v[54:55]
	;; [unrolled: 1-line block ×4, first 2 shown]
	v_fma_f64 v[157:158], v[58:59], s[22:23], v[87:88]
	v_fma_f64 v[161:162], v[8:9], s[16:17], v[93:94]
	;; [unrolled: 1-line block ×4, first 2 shown]
	v_fma_f64 v[95:96], v[44:45], s[18:19], -v[95:96]
	v_fma_f64 v[169:170], v[60:61], s[10:11], v[99:100]
	v_fma_f64 v[171:172], v[44:45], s[0:1], v[103:104]
	v_fma_f64 v[99:100], v[60:61], s[28:29], v[99:100]
	v_fma_f64 v[103:104], v[44:45], s[0:1], -v[103:104]
	v_fma_f64 v[173:174], v[60:61], s[14:15], v[107:108]
	v_fma_f64 v[175:176], v[44:45], s[12:13], v[109:110]
	v_fma_f64 v[107:108], v[60:61], s[34:35], v[107:108]
	;; [unrolled: 4-line block ×3, first 2 shown]
	v_fma_f64 v[117:118], v[44:45], s[2:3], -v[117:118]
	v_fma_f64 v[183:184], v[44:45], s[16:17], v[46:47]
	v_fma_f64 v[44:45], v[44:45], s[16:17], -v[46:47]
	v_fma_f64 v[181:182], v[60:61], s[26:27], v[48:49]
	v_fma_f64 v[48:49], v[60:61], s[22:23], v[48:49]
	v_fma_f64 v[93:94], v[8:9], s[16:17], -v[93:94]
	v_fma_f64 v[185:186], v[58:59], s[24:25], v[111:112]
	v_fma_f64 v[111:112], v[58:59], s[20:21], v[111:112]
	;; [unrolled: 1-line block ×5, first 2 shown]
	v_fma_f64 v[119:120], v[8:9], s[18:19], -v[119:120]
	v_mul_f64_e32 v[36:37], s[12:13], v[36:37]
	v_mul_f64_e32 v[50:51], s[34:35], v[50:51]
	;; [unrolled: 1-line block ×4, first 2 shown]
	v_add_f64_e32 v[10:11], v[10:11], v[22:23]
	v_add_f64_e32 v[0:1], v[0:1], v[20:21]
	v_fma_f64 v[20:21], v[60:61], s[20:21], v[89:90]
	v_fma_f64 v[89:90], v[60:61], s[24:25], v[89:90]
	;; [unrolled: 1-line block ×5, first 2 shown]
	v_fma_f64 v[52:53], v[8:9], s[12:13], -v[52:53]
	v_mul_f64_e32 v[143:144], s[12:13], v[71:72]
	v_add_f64_e32 v[163:164], v[4:5], v[163:164]
	v_add_f64_e32 v[95:96], v[4:5], v[95:96]
	;; [unrolled: 1-line block ×16, first 2 shown]
	v_fma_f64 v[44:45], v[8:9], s[0:1], -v[129:130]
	v_fma_f64 v[129:130], v[8:9], s[0:1], v[129:130]
	v_add_f64_e32 v[181:182], v[6:7], v[181:182]
	v_mul_f64_e32 v[145:146], s[14:15], v[75:76]
	v_fma_f64 v[155:156], v[56:57], s[10:11], v[85:86]
	v_fma_f64 v[159:160], v[62:63], s[0:1], v[91:92]
	;; [unrolled: 1-line block ×3, first 2 shown]
	v_fma_f64 v[91:92], v[62:63], s[0:1], -v[91:92]
	v_fma_f64 v[165:166], v[56:57], s[26:27], v[97:98]
	v_fma_f64 v[46:47], v[62:63], s[16:17], v[101:102]
	;; [unrolled: 1-line block ×3, first 2 shown]
	v_mul_f64_e32 v[131:132], s[2:3], v[71:72]
	v_mul_f64_e32 v[137:138], s[24:25], v[75:76]
	v_add_f64_e32 v[10:11], v[10:11], v[14:15]
	v_add_f64_e32 v[0:1], v[0:1], v[12:13]
	v_add_f64_e32 v[20:21], v[6:7], v[20:21]
	v_add_f64_e32 v[89:90], v[6:7], v[89:90]
	v_add_f64_e32 v[6:7], v[6:7], v[48:49]
	v_fma_f64 v[48:49], v[58:59], s[30:31], v[40:41]
	v_fma_f64 v[40:41], v[58:59], s[6:7], v[40:41]
	v_fma_f64 v[14:15], v[62:63], s[16:17], -v[101:102]
	v_fma_f64 v[101:102], v[56:57], s[6:7], v[105:106]
	v_fma_f64 v[58:59], v[56:57], s[24:25], v[121:122]
	;; [unrolled: 1-line block ×3, first 2 shown]
	v_add_f64_e32 v[93:94], v[93:94], v[95:96]
	v_mul_f64_e32 v[141:142], s[22:23], v[75:76]
	v_add_f64_e32 v[18:19], v[18:19], v[99:100]
	v_add_f64_e32 v[52:53], v[52:53], v[103:104]
	;; [unrolled: 1-line block ×3, first 2 shown]
	v_fma_f64 v[12:13], v[62:63], s[2:3], v[113:114]
	v_add_f64_e32 v[103:104], v[111:112], v[107:108]
	v_fma_f64 v[105:106], v[56:57], s[30:31], v[105:106]
	v_fma_f64 v[113:114], v[62:63], s[2:3], -v[113:114]
	v_add_f64_e32 v[60:61], v[60:61], v[171:172]
	v_add_f64_e32 v[107:108], v[125:126], v[115:116]
	;; [unrolled: 1-line block ×3, first 2 shown]
	v_mul_f64_e32 v[133:134], s[30:31], v[75:76]
	v_mul_f64_e32 v[147:148], s[12:13], v[69:70]
	v_add_f64_e32 v[44:45], v[44:45], v[117:118]
	v_mul_f64_e32 v[71:72], s[0:1], v[71:72]
	v_mul_f64_e32 v[149:150], s[34:35], v[77:78]
	;; [unrolled: 1-line block ×3, first 2 shown]
	v_add_f64_e32 v[161:162], v[161:162], v[163:164]
	v_add_f64_e32 v[167:168], v[167:168], v[169:170]
	;; [unrolled: 1-line block ×5, first 2 shown]
	v_mul_f64_e32 v[151:152], s[2:3], v[69:70]
	v_mul_f64_e32 v[153:154], s[0:1], v[69:70]
	;; [unrolled: 1-line block ×3, first 2 shown]
	v_fma_f64 v[169:170], v[73:74], s[20:21], v[135:136]
	v_add_f64_e32 v[10:11], v[10:11], v[26:27]
	v_add_f64_e32 v[0:1], v[0:1], v[24:25]
	v_fma_f64 v[24:25], v[8:9], s[2:3], v[54:55]
	v_fma_f64 v[8:9], v[8:9], s[2:3], -v[54:55]
	v_fma_f64 v[26:27], v[62:63], s[18:19], v[127:128]
	v_fma_f64 v[127:128], v[62:63], s[18:19], -v[127:128]
	v_add_f64_e32 v[87:88], v[87:88], v[89:90]
	v_add_f64_e32 v[20:21], v[157:158], v[20:21]
	v_fma_f64 v[54:55], v[56:57], s[14:15], v[36:37]
	v_fma_f64 v[36:37], v[56:57], s[34:35], v[36:37]
	;; [unrolled: 1-line block ×3, first 2 shown]
	v_fma_f64 v[50:51], v[62:63], s[12:13], -v[50:51]
	v_add_f64_e32 v[6:7], v[40:41], v[6:7]
	v_add_f64_e32 v[48:49], v[48:49], v[181:182]
	v_mul_f64_e32 v[157:158], s[16:17], v[69:70]
	v_fma_f64 v[135:136], v[73:74], s[24:25], v[135:136]
	v_fma_f64 v[129:130], v[73:74], s[14:15], v[143:144]
	v_add_f64_e32 v[18:19], v[97:98], v[18:19]
	v_add_f64_e32 v[14:15], v[14:15], v[52:53]
	;; [unrolled: 1-line block ×3, first 2 shown]
	v_mul_f64_e32 v[22:23], s[30:31], v[77:78]
	v_mul_f64_e32 v[62:63], s[28:29], v[77:78]
	v_fma_f64 v[89:90], v[73:74], s[6:7], v[131:132]
	v_fma_f64 v[171:172], v[79:80], s[18:19], v[137:138]
	v_fma_f64 v[137:138], v[79:80], s[18:19], -v[137:138]
	v_fma_f64 v[40:41], v[79:80], s[16:17], -v[141:142]
	v_add_f64_e32 v[46:47], v[46:47], v[60:61]
	v_add_f64_e32 v[60:61], v[105:106], v[103:104]
	v_add_f64_e32 v[97:98], v[113:114], v[109:110]
	v_mul_f64_e32 v[77:78], s[24:25], v[77:78]
	v_fma_f64 v[95:96], v[79:80], s[2:3], v[133:134]
	v_fma_f64 v[131:132], v[73:74], s[30:31], v[131:132]
	v_fma_f64 v[133:134], v[79:80], s[2:3], -v[133:134]
	v_mul_f64_e32 v[69:70], s[18:19], v[69:70]
	v_fma_f64 v[119:120], v[73:74], s[34:35], v[143:144]
	v_fma_f64 v[125:126], v[79:80], s[12:13], v[145:146]
	v_fma_f64 v[143:144], v[83:84], s[12:13], v[149:150]
	v_add_f64_e32 v[12:13], v[12:13], v[111:112]
	v_add_f64_e32 v[10:11], v[10:11], v[30:31]
	v_add_f64_e32 v[0:1], v[0:1], v[28:29]
	v_fma_f64 v[30:31], v[73:74], s[22:23], v[139:140]
	v_add_f64_e32 v[4:5], v[8:9], v[4:5]
	v_add_f64_e32 v[8:9], v[24:25], v[183:184]
	v_fma_f64 v[24:25], v[73:74], s[26:27], v[139:140]
	v_fma_f64 v[139:140], v[79:80], s[12:13], -v[145:146]
	v_add_f64_e32 v[85:86], v[85:86], v[87:88]
	v_add_f64_e32 v[87:88], v[91:92], v[93:94]
	;; [unrolled: 1-line block ×5, first 2 shown]
	v_fma_f64 v[28:29], v[79:80], s[16:17], v[141:142]
	v_fma_f64 v[141:142], v[73:74], s[10:11], v[71:72]
	;; [unrolled: 1-line block ×4, first 2 shown]
	v_fma_f64 v[75:76], v[79:80], s[0:1], -v[75:76]
	v_fma_f64 v[79:80], v[81:82], s[14:15], v[147:148]
	v_fma_f64 v[145:146], v[81:82], s[34:35], v[147:148]
	v_fma_f64 v[147:148], v[83:84], s[12:13], -v[149:150]
	v_add_f64_e32 v[149:150], v[159:160], v[161:162]
	v_add_f64_e32 v[91:92], v[165:166], v[167:168]
	;; [unrolled: 1-line block ×6, first 2 shown]
	v_fma_f64 v[36:37], v[81:82], s[30:31], v[151:152]
	v_fma_f64 v[103:104], v[81:82], s[26:27], v[157:158]
	v_fma_f64 v[105:106], v[83:84], s[16:17], -v[163:164]
	v_add_f64_e32 v[18:19], v[135:136], v[18:19]
	v_fma_f64 v[54:55], v[83:84], s[0:1], v[62:63]
	v_fma_f64 v[62:63], v[83:84], s[0:1], -v[62:63]
	v_add_f64_e32 v[40:41], v[40:41], v[97:98]
	v_fma_f64 v[101:102], v[83:84], s[16:17], v[163:164]
	v_fma_f64 v[109:110], v[83:84], s[18:19], v[77:78]
	v_fma_f64 v[77:78], v[83:84], s[18:19], -v[77:78]
	v_fma_f64 v[99:100], v[81:82], s[22:23], v[157:158]
	v_fma_f64 v[107:108], v[81:82], s[20:21], v[69:70]
	v_add_f64_e32 v[10:11], v[10:11], v[34:35]
	v_add_f64_e32 v[0:1], v[0:1], v[2:3]
	v_fma_f64 v[34:35], v[83:84], s[2:3], v[22:23]
	v_add_f64_e32 v[2:3], v[50:51], v[4:5]
	v_add_f64_e32 v[4:5], v[56:57], v[8:9]
	v_fma_f64 v[50:51], v[81:82], s[10:11], v[153:154]
	v_add_f64_e32 v[24:25], v[24:25], v[52:53]
	v_fma_f64 v[22:23], v[83:84], s[2:3], -v[22:23]
	v_fma_f64 v[56:57], v[81:82], s[28:29], v[153:154]
	v_add_f64_e32 v[52:53], v[129:130], v[93:94]
	v_add_f64_e32 v[44:45], v[139:140], v[44:45]
	;; [unrolled: 1-line block ×7, first 2 shown]
	v_fma_f64 v[8:9], v[81:82], s[6:7], v[151:152]
	v_fma_f64 v[69:70], v[81:82], s[24:25], v[69:70]
	v_add_f64_e32 v[46:47], v[171:172], v[46:47]
	v_add_f64_e32 v[28:29], v[28:29], v[12:13]
	;; [unrolled: 1-line block ×22, first 2 shown]
	v_and_b32_e32 v44, 0xffff, v65
	v_lshlrev_b32_e32 v45, 4, v68
	v_add_f64_e32 v[16:17], v[54:55], v[28:29]
	v_add_f64_e32 v[0:1], v[143:144], v[81:82]
	v_add_f64_e32 v[10:11], v[8:9], v[87:88]
	v_add_f64_e32 v[8:9], v[34:35], v[46:47]
	v_add_f64_e32 v[30:31], v[99:100], v[58:59]
	v_add_f64_e32 v[28:29], v[101:102], v[60:61]
	v_add_f64_e32 v[38:39], v[69:70], v[71:72]
	v_add_f64_e32 v[34:35], v[107:108], v[48:49]
	v_mul_u32_u24_e32 v44, 0x8f0, v44
	s_delay_alu instid0(VALU_DEP_1)
	v_add3_u32 v44, 0, v44, v45
	v_add_f64_e32 v[42:43], v[91:92], v[42:43]
	v_add_f64_e32 v[40:41], v[93:94], v[32:33]
	;; [unrolled: 1-line block ×4, first 2 shown]
	ds_store_b128 v44, v[24:27] offset:416
	ds_store_b128 v44, v[20:23] offset:624
	ds_store_b128 v44, v[12:15] offset:832
	ds_store_b128 v44, v[4:7] offset:1040
	ds_store_b128 v44, v[0:3] offset:1248
	ds_store_b128 v44, v[8:11] offset:1456
	ds_store_b128 v44, v[16:19] offset:1664
	ds_store_b128 v44, v[28:31] offset:1872
	ds_store_b128 v44, v[40:43]
	ds_store_b128 v44, v[36:39] offset:208
	ds_store_b128 v44, v[32:35] offset:2080
.LBB0_17:
	s_or_b32 exec_lo, exec_lo, s33
	v_mul_u32_u24_e32 v0, 9, v64
	global_wb scope:SCOPE_SE
	s_wait_dscnt 0x0
	s_barrier_signal -1
	s_barrier_wait -1
	global_inv scope:SCOPE_SE
	v_lshlrev_b32_e32 v32, 4, v0
	s_mov_b32 s2, 0x134454ff
	s_mov_b32 s3, 0x3fee6f0e
	s_mov_b32 s1, 0xbfee6f0e
	s_wait_alu 0xfffe
	s_mov_b32 s0, s2
	s_clause 0x8
	global_load_b128 v[0:3], v32, s[4:5] offset:2112
	global_load_b128 v[4:7], v32, s[4:5] offset:2144
	;; [unrolled: 1-line block ×9, first 2 shown]
	ds_load_b128 v[36:39], v124 offset:6864
	ds_load_b128 v[40:43], v124 offset:11440
	;; [unrolled: 1-line block ×6, first 2 shown]
	s_mov_b32 s10, 0x4755a5e
	s_mov_b32 s11, 0x3fe2cf23
	s_mov_b32 s7, 0xbfe2cf23
	s_wait_alu 0xfffe
	s_mov_b32 s6, s10
	s_mov_b32 s12, 0x372fe950
	;; [unrolled: 1-line block ×5, first 2 shown]
	s_wait_loadcnt_dscnt 0x805
	v_mul_f64_e32 v[60:61], v[38:39], v[2:3]
	v_mul_f64_e32 v[2:3], v[36:37], v[2:3]
	s_wait_loadcnt_dscnt 0x704
	v_mul_f64_e32 v[62:63], v[42:43], v[6:7]
	v_mul_f64_e32 v[6:7], v[40:41], v[6:7]
	s_wait_loadcnt_dscnt 0x603
	v_mul_f64_e32 v[68:69], v[44:45], v[10:11]
	s_wait_loadcnt_dscnt 0x502
	v_mul_f64_e32 v[70:71], v[48:49], v[14:15]
	v_mul_f64_e32 v[14:15], v[50:51], v[14:15]
	;; [unrolled: 1-line block ×3, first 2 shown]
	s_wait_loadcnt_dscnt 0x401
	v_mul_f64_e32 v[72:73], v[54:55], v[18:19]
	v_mul_f64_e32 v[18:19], v[52:53], v[18:19]
	v_fma_f64 v[36:37], v[36:37], v[0:1], -v[60:61]
	v_fma_f64 v[38:39], v[38:39], v[0:1], v[2:3]
	v_fma_f64 v[40:41], v[40:41], v[4:5], -v[62:63]
	v_fma_f64 v[42:43], v[42:43], v[4:5], v[6:7]
	v_fma_f64 v[46:47], v[46:47], v[8:9], v[68:69]
	;; [unrolled: 1-line block ×3, first 2 shown]
	v_fma_f64 v[12:13], v[48:49], v[12:13], -v[14:15]
	v_fma_f64 v[14:15], v[44:45], v[8:9], -v[10:11]
	ds_load_b128 v[0:3], v124 offset:9152
	ds_load_b128 v[4:7], v124 offset:13728
	;; [unrolled: 1-line block ×3, first 2 shown]
	s_wait_loadcnt_dscnt 0x303
	v_mul_f64_e32 v[44:45], v[58:59], v[22:23]
	v_mul_f64_e32 v[22:23], v[56:57], v[22:23]
	v_fma_f64 v[52:53], v[52:53], v[16:17], -v[72:73]
	v_fma_f64 v[16:17], v[54:55], v[16:17], v[18:19]
	s_wait_loadcnt_dscnt 0x202
	v_mul_f64_e32 v[48:49], v[2:3], v[26:27]
	v_mul_f64_e32 v[26:27], v[0:1], v[26:27]
	s_wait_loadcnt_dscnt 0x101
	v_mul_f64_e32 v[60:61], v[6:7], v[30:31]
	s_wait_loadcnt_dscnt 0x0
	v_mul_f64_e32 v[62:63], v[10:11], v[34:35]
	v_mul_f64_e32 v[30:31], v[4:5], v[30:31]
	;; [unrolled: 1-line block ×3, first 2 shown]
	v_add_f64_e64 v[72:73], v[40:41], -v[36:37]
	v_add_f64_e64 v[76:77], v[38:39], -v[42:43]
	v_add_f64_e32 v[18:19], v[42:43], v[46:47]
	v_add_f64_e32 v[54:55], v[38:39], v[50:51]
	;; [unrolled: 1-line block ×4, first 2 shown]
	v_add_f64_e64 v[74:75], v[14:15], -v[12:13]
	v_fma_f64 v[44:45], v[56:57], v[20:21], -v[44:45]
	v_fma_f64 v[20:21], v[58:59], v[20:21], v[22:23]
	v_add_f64_e64 v[78:79], v[50:51], -v[46:47]
	v_add_f64_e64 v[80:81], v[42:43], -v[38:39]
	;; [unrolled: 1-line block ×3, first 2 shown]
	v_fma_f64 v[22:23], v[0:1], v[24:25], -v[48:49]
	v_fma_f64 v[24:25], v[2:3], v[24:25], v[26:27]
	v_fma_f64 v[4:5], v[4:5], v[28:29], -v[60:61]
	v_fma_f64 v[8:9], v[8:9], v[32:33], -v[62:63]
	v_fma_f64 v[6:7], v[6:7], v[28:29], v[30:31]
	v_fma_f64 v[10:11], v[10:11], v[32:33], v[34:35]
	v_add_f64_e64 v[26:27], v[38:39], -v[50:51]
	v_add_f64_e64 v[30:31], v[36:37], -v[12:13]
	;; [unrolled: 1-line block ×4, first 2 shown]
	ds_load_b128 v[0:3], v124
	global_wb scope:SCOPE_SE
	s_wait_dscnt 0x0
	s_barrier_signal -1
	s_barrier_wait -1
	global_inv scope:SCOPE_SE
	v_fma_f64 v[18:19], v[18:19], -0.5, v[16:17]
	v_fma_f64 v[34:35], v[54:55], -0.5, v[16:17]
	v_fma_f64 v[48:49], v[68:69], -0.5, v[52:53]
	v_fma_f64 v[54:55], v[70:71], -0.5, v[52:53]
	v_add_f64_e64 v[68:69], v[36:37], -v[40:41]
	v_add_f64_e64 v[70:71], v[12:13], -v[14:15]
	v_add_f64_e32 v[36:37], v[52:53], v[36:37]
	v_add_f64_e32 v[16:17], v[16:17], v[38:39]
	;; [unrolled: 1-line block ×8, first 2 shown]
	v_add_f64_e64 v[94:95], v[20:21], -v[10:11]
	v_add_f64_e64 v[100:101], v[44:45], -v[8:9]
	;; [unrolled: 1-line block ×4, first 2 shown]
	v_fma_f64 v[84:85], v[30:31], s[0:1], v[18:19]
	v_fma_f64 v[86:87], v[32:33], s[2:3], v[34:35]
	;; [unrolled: 1-line block ×8, first 2 shown]
	v_add_f64_e32 v[36:37], v[36:37], v[40:41]
	v_add_f64_e32 v[16:17], v[16:17], v[42:43]
	v_fma_f64 v[38:39], v[56:57], -0.5, v[0:1]
	v_fma_f64 v[0:1], v[58:59], -0.5, v[0:1]
	v_fma_f64 v[52:53], v[60:61], -0.5, v[2:3]
	v_add_f64_e32 v[56:57], v[68:69], v[70:71]
	v_add_f64_e32 v[58:59], v[72:73], v[74:75]
	;; [unrolled: 1-line block ×3, first 2 shown]
	v_fma_f64 v[2:3], v[62:63], -0.5, v[2:3]
	v_add_f64_e32 v[62:63], v[80:81], v[82:83]
	v_add_f64_e64 v[76:77], v[10:11], -v[6:7]
	v_add_f64_e64 v[78:79], v[6:7], -v[10:11]
	s_wait_alu 0xfffe
	v_fma_f64 v[68:69], v[32:33], s[6:7], v[84:85]
	v_fma_f64 v[70:71], v[30:31], s[6:7], v[86:87]
	;; [unrolled: 1-line block ×8, first 2 shown]
	v_add_f64_e64 v[32:33], v[44:45], -v[22:23]
	v_add_f64_e64 v[44:45], v[22:23], -v[44:45]
	;; [unrolled: 1-line block ×4, first 2 shown]
	v_add_f64_e32 v[22:23], v[92:93], v[22:23]
	v_add_f64_e32 v[24:25], v[98:99], v[24:25]
	v_add_f64_e64 v[34:35], v[8:9], -v[4:5]
	v_add_f64_e64 v[48:49], v[4:5], -v[8:9]
	v_add_f64_e32 v[14:15], v[36:37], v[14:15]
	v_add_f64_e32 v[16:17], v[16:17], v[46:47]
	v_fma_f64 v[40:41], v[94:95], s[2:3], v[38:39]
	v_fma_f64 v[38:39], v[94:95], s[0:1], v[38:39]
	;; [unrolled: 1-line block ×16, first 2 shown]
	v_add_f64_e32 v[20:21], v[20:21], v[78:79]
	v_add_f64_e32 v[4:5], v[22:23], v[4:5]
	;; [unrolled: 1-line block ×6, first 2 shown]
	v_fma_f64 v[22:23], v[96:97], s[10:11], v[40:41]
	v_fma_f64 v[24:25], v[96:97], s[6:7], v[38:39]
	v_fma_f64 v[38:39], v[102:103], s[6:7], v[80:81]
	v_fma_f64 v[36:37], v[94:95], s[10:11], v[42:43]
	v_fma_f64 v[0:1], v[94:95], s[6:7], v[0:1]
	v_fma_f64 v[40:41], v[102:103], s[10:11], v[52:53]
	v_fma_f64 v[42:43], v[100:101], s[6:7], v[82:83]
	v_fma_f64 v[2:3], v[100:101], s[10:11], v[2:3]
	v_mul_f64_e32 v[46:47], s[10:11], v[68:69]
	v_mul_f64_e32 v[48:49], s[2:3], v[70:71]
	;; [unrolled: 1-line block ×8, first 2 shown]
	v_add_f64_e32 v[4:5], v[4:5], v[8:9]
	v_add_f64_e32 v[6:7], v[6:7], v[10:11]
	;; [unrolled: 1-line block ×4, first 2 shown]
	v_fma_f64 v[50:51], v[32:33], s[12:13], v[22:23]
	v_fma_f64 v[76:77], v[32:33], s[12:13], v[24:25]
	;; [unrolled: 1-line block ×10, first 2 shown]
	v_fma_f64 v[30:31], v[30:31], s[2:3], -v[52:53]
	v_fma_f64 v[36:37], v[18:19], s[10:11], -v[54:55]
	v_fma_f64 v[46:47], v[68:69], s[14:15], v[56:57]
	v_fma_f64 v[48:49], v[70:71], s[12:13], v[58:59]
	v_fma_f64 v[52:53], v[72:73], s[0:1], -v[60:61]
	v_fma_f64 v[54:55], v[74:75], s[6:7], -v[62:63]
	s_mov_b32 s1, exec_lo
	v_add_f64_e32 v[0:1], v[4:5], v[8:9]
	v_add_f64_e32 v[2:3], v[6:7], v[10:11]
	v_add_f64_e64 v[4:5], v[4:5], -v[8:9]
	v_add_f64_e64 v[6:7], v[6:7], -v[10:11]
	v_add_f64_e32 v[8:9], v[50:51], v[24:25]
	v_add_f64_e32 v[12:13], v[32:33], v[26:27]
	;; [unrolled: 1-line block ×8, first 2 shown]
	v_add_f64_e64 v[24:25], v[50:51], -v[24:25]
	v_add_f64_e64 v[28:29], v[32:33], -v[26:27]
	;; [unrolled: 1-line block ×8, first 2 shown]
	ds_store_b128 v124, v[0:3]
	ds_store_b128 v124, v[8:11] offset:2288
	ds_store_b128 v124, v[12:15] offset:4576
	;; [unrolled: 1-line block ×9, first 2 shown]
	global_wb scope:SCOPE_SE
	s_wait_dscnt 0x0
	s_barrier_signal -1
	s_barrier_wait -1
	global_inv scope:SCOPE_SE
	ds_load_b128 v[4:7], v124
	v_lshlrev_b32_e32 v0, 4, v64
                                        ; implicit-def: $vgpr8_vgpr9
                                        ; implicit-def: $vgpr10_vgpr11
                                        ; implicit-def: $vgpr12_vgpr13
	s_delay_alu instid0(VALU_DEP_1)
	v_sub_nc_u32_e32 v14, 0, v0
                                        ; implicit-def: $vgpr0_vgpr1
	v_cmpx_ne_u32_e32 0, v64
	s_wait_alu 0xfffe
	s_xor_b32 s1, exec_lo, s1
	s_cbranch_execz .LBB0_19
; %bb.18:
	v_mov_b32_e32 v65, 0
	s_delay_alu instid0(VALU_DEP_1) | instskip(NEXT) | instid1(VALU_DEP_1)
	v_lshlrev_b64_e32 v[0:1], 4, v[64:65]
	v_add_co_u32 v0, s0, s4, v0
	s_wait_alu 0xf1ff
	s_delay_alu instid0(VALU_DEP_2)
	v_add_co_ci_u32_e64 v1, s0, s5, v1, s0
	global_load_b128 v[15:18], v[0:1], off offset:22672
	ds_load_b128 v[0:3], v14 offset:22880
	s_wait_dscnt 0x0
	v_add_f64_e64 v[8:9], v[4:5], -v[0:1]
	v_add_f64_e32 v[10:11], v[6:7], v[2:3]
	v_add_f64_e64 v[2:3], v[6:7], -v[2:3]
	v_add_f64_e32 v[0:1], v[4:5], v[0:1]
	s_delay_alu instid0(VALU_DEP_4) | instskip(NEXT) | instid1(VALU_DEP_4)
	v_mul_f64_e32 v[6:7], 0.5, v[8:9]
	v_mul_f64_e32 v[4:5], 0.5, v[10:11]
	s_delay_alu instid0(VALU_DEP_4) | instskip(SKIP_1) | instid1(VALU_DEP_3)
	v_mul_f64_e32 v[2:3], 0.5, v[2:3]
	s_wait_loadcnt 0x0
	v_mul_f64_e32 v[8:9], v[6:7], v[17:18]
	s_delay_alu instid0(VALU_DEP_2) | instskip(SKIP_1) | instid1(VALU_DEP_3)
	v_fma_f64 v[10:11], v[4:5], v[17:18], v[2:3]
	v_fma_f64 v[2:3], v[4:5], v[17:18], -v[2:3]
	v_fma_f64 v[12:13], v[0:1], 0.5, v[8:9]
	v_fma_f64 v[0:1], v[0:1], 0.5, -v[8:9]
	s_delay_alu instid0(VALU_DEP_4) | instskip(NEXT) | instid1(VALU_DEP_4)
	v_fma_f64 v[10:11], -v[15:16], v[6:7], v[10:11]
	v_fma_f64 v[2:3], -v[15:16], v[6:7], v[2:3]
	s_delay_alu instid0(VALU_DEP_4) | instskip(NEXT) | instid1(VALU_DEP_4)
	v_fma_f64 v[8:9], v[4:5], v[15:16], v[12:13]
	v_fma_f64 v[0:1], -v[4:5], v[15:16], v[0:1]
	v_dual_mov_b32 v12, v64 :: v_dual_mov_b32 v13, v65
                                        ; implicit-def: $vgpr4_vgpr5
.LBB0_19:
	s_wait_alu 0xfffe
	s_and_not1_saveexec_b32 s0, s1
	s_cbranch_execz .LBB0_21
; %bb.20:
	s_wait_dscnt 0x0
	v_add_f64_e32 v[8:9], v[4:5], v[6:7]
	v_add_f64_e64 v[0:1], v[4:5], -v[6:7]
	v_mov_b32_e32 v6, 0
	v_mov_b32_e32 v10, 0
	v_dual_mov_b32 v11, 0 :: v_dual_mov_b32 v12, 0
	s_delay_alu instid0(VALU_DEP_2)
	v_mov_b32_e32 v2, v10
	ds_load_b64 v[4:5], v6 offset:11448
	v_mov_b32_e32 v13, 0
	v_mov_b32_e32 v3, v11
	s_wait_dscnt 0x0
	v_xor_b32_e32 v5, 0x80000000, v5
	ds_store_b64 v6, v[4:5] offset:11448
.LBB0_21:
	s_wait_alu 0xfffe
	s_or_b32 exec_lo, exec_lo, s0
	s_wait_dscnt 0x0
	v_lshlrev_b64_e32 v[4:5], 4, v[12:13]
	s_add_nc_u64 s[0:1], s[4:5], 0x5890
	s_wait_alu 0xfffe
	s_delay_alu instid0(VALU_DEP_1) | instskip(SKIP_1) | instid1(VALU_DEP_2)
	v_add_co_u32 v23, s0, s0, v4
	s_wait_alu 0xf1ff
	v_add_co_ci_u32_e64 v24, s0, s1, v5, s0
	s_clause 0x1
	global_load_b128 v[15:18], v[23:24], off offset:2288
	global_load_b128 v[19:22], v[23:24], off offset:4576
	ds_store_2addr_b64 v124, v[8:9], v[10:11] offset1:1
	ds_store_b128 v14, v[0:3] offset:22880
	ds_load_b128 v[0:3], v124 offset:2288
	ds_load_b128 v[6:9], v14 offset:20592
	s_wait_dscnt 0x0
	v_add_f64_e64 v[10:11], v[0:1], -v[6:7]
	v_add_f64_e32 v[12:13], v[2:3], v[8:9]
	v_add_f64_e64 v[2:3], v[2:3], -v[8:9]
	v_add_f64_e32 v[0:1], v[0:1], v[6:7]
	s_delay_alu instid0(VALU_DEP_4) | instskip(NEXT) | instid1(VALU_DEP_4)
	v_mul_f64_e32 v[8:9], 0.5, v[10:11]
	v_mul_f64_e32 v[10:11], 0.5, v[12:13]
	s_delay_alu instid0(VALU_DEP_4) | instskip(SKIP_1) | instid1(VALU_DEP_3)
	v_mul_f64_e32 v[2:3], 0.5, v[2:3]
	s_wait_loadcnt 0x1
	v_mul_f64_e32 v[6:7], v[8:9], v[17:18]
	s_delay_alu instid0(VALU_DEP_2) | instskip(SKIP_1) | instid1(VALU_DEP_3)
	v_fma_f64 v[12:13], v[10:11], v[17:18], v[2:3]
	v_fma_f64 v[2:3], v[10:11], v[17:18], -v[2:3]
	v_fma_f64 v[17:18], v[0:1], 0.5, v[6:7]
	v_fma_f64 v[0:1], v[0:1], 0.5, -v[6:7]
	s_delay_alu instid0(VALU_DEP_4) | instskip(NEXT) | instid1(VALU_DEP_4)
	v_fma_f64 v[12:13], -v[15:16], v[8:9], v[12:13]
	v_fma_f64 v[2:3], -v[15:16], v[8:9], v[2:3]
	global_load_b128 v[6:9], v[23:24], off offset:6864
	v_fma_f64 v[17:18], v[10:11], v[15:16], v[17:18]
	v_fma_f64 v[0:1], -v[10:11], v[15:16], v[0:1]
	v_add_nc_u32_e32 v10, 0x800, v124
	ds_store_2addr_b64 v10, v[17:18], v[12:13] offset0:30 offset1:31
	ds_store_b128 v14, v[0:3] offset:20592
	ds_load_b128 v[0:3], v124 offset:4576
	ds_load_b128 v[10:13], v14 offset:18304
	s_wait_dscnt 0x0
	v_add_f64_e64 v[15:16], v[0:1], -v[10:11]
	v_add_f64_e32 v[17:18], v[2:3], v[12:13]
	v_add_f64_e64 v[2:3], v[2:3], -v[12:13]
	v_add_f64_e32 v[0:1], v[0:1], v[10:11]
	s_delay_alu instid0(VALU_DEP_4) | instskip(NEXT) | instid1(VALU_DEP_4)
	v_mul_f64_e32 v[12:13], 0.5, v[15:16]
	v_mul_f64_e32 v[15:16], 0.5, v[17:18]
	s_delay_alu instid0(VALU_DEP_4) | instskip(SKIP_1) | instid1(VALU_DEP_3)
	v_mul_f64_e32 v[2:3], 0.5, v[2:3]
	s_wait_loadcnt 0x1
	v_mul_f64_e32 v[10:11], v[12:13], v[21:22]
	s_delay_alu instid0(VALU_DEP_2) | instskip(SKIP_1) | instid1(VALU_DEP_3)
	v_fma_f64 v[17:18], v[15:16], v[21:22], v[2:3]
	v_fma_f64 v[2:3], v[15:16], v[21:22], -v[2:3]
	v_fma_f64 v[21:22], v[0:1], 0.5, v[10:11]
	v_fma_f64 v[0:1], v[0:1], 0.5, -v[10:11]
	s_delay_alu instid0(VALU_DEP_4) | instskip(NEXT) | instid1(VALU_DEP_4)
	v_fma_f64 v[17:18], -v[19:20], v[12:13], v[17:18]
	v_fma_f64 v[2:3], -v[19:20], v[12:13], v[2:3]
	global_load_b128 v[10:13], v[23:24], off offset:9152
	v_fma_f64 v[21:22], v[15:16], v[19:20], v[21:22]
	v_fma_f64 v[0:1], -v[15:16], v[19:20], v[0:1]
	v_add_nc_u32_e32 v15, 0x1000, v124
	ds_store_2addr_b64 v15, v[21:22], v[17:18] offset0:60 offset1:61
	ds_store_b128 v14, v[0:3] offset:18304
	ds_load_b128 v[0:3], v124 offset:6864
	ds_load_b128 v[15:18], v14 offset:16016
	s_wait_dscnt 0x0
	v_add_f64_e64 v[19:20], v[0:1], -v[15:16]
	v_add_f64_e32 v[21:22], v[2:3], v[17:18]
	v_add_f64_e64 v[2:3], v[2:3], -v[17:18]
	v_add_f64_e32 v[0:1], v[0:1], v[15:16]
	s_delay_alu instid0(VALU_DEP_4) | instskip(NEXT) | instid1(VALU_DEP_4)
	v_mul_f64_e32 v[17:18], 0.5, v[19:20]
	v_mul_f64_e32 v[19:20], 0.5, v[21:22]
	s_delay_alu instid0(VALU_DEP_4) | instskip(SKIP_1) | instid1(VALU_DEP_3)
	v_mul_f64_e32 v[2:3], 0.5, v[2:3]
	s_wait_loadcnt 0x1
	v_mul_f64_e32 v[15:16], v[17:18], v[8:9]
	s_delay_alu instid0(VALU_DEP_2) | instskip(SKIP_1) | instid1(VALU_DEP_3)
	v_fma_f64 v[21:22], v[19:20], v[8:9], v[2:3]
	v_fma_f64 v[2:3], v[19:20], v[8:9], -v[2:3]
	v_fma_f64 v[8:9], v[0:1], 0.5, v[15:16]
	v_fma_f64 v[0:1], v[0:1], 0.5, -v[15:16]
	s_delay_alu instid0(VALU_DEP_4) | instskip(NEXT) | instid1(VALU_DEP_4)
	v_fma_f64 v[15:16], -v[6:7], v[17:18], v[21:22]
	v_fma_f64 v[2:3], -v[6:7], v[17:18], v[2:3]
	s_delay_alu instid0(VALU_DEP_4) | instskip(NEXT) | instid1(VALU_DEP_4)
	v_fma_f64 v[8:9], v[19:20], v[6:7], v[8:9]
	v_fma_f64 v[0:1], -v[19:20], v[6:7], v[0:1]
	v_add_nc_u32_e32 v6, 0x1800, v124
	ds_store_2addr_b64 v6, v[8:9], v[15:16] offset0:90 offset1:91
	ds_store_b128 v14, v[0:3] offset:16016
	ds_load_b128 v[0:3], v124 offset:9152
	ds_load_b128 v[6:9], v14 offset:13728
	s_wait_dscnt 0x0
	v_add_f64_e64 v[15:16], v[0:1], -v[6:7]
	v_add_f64_e32 v[17:18], v[2:3], v[8:9]
	v_add_f64_e64 v[2:3], v[2:3], -v[8:9]
	v_add_f64_e32 v[0:1], v[0:1], v[6:7]
	s_delay_alu instid0(VALU_DEP_4) | instskip(NEXT) | instid1(VALU_DEP_4)
	v_mul_f64_e32 v[8:9], 0.5, v[15:16]
	v_mul_f64_e32 v[15:16], 0.5, v[17:18]
	s_delay_alu instid0(VALU_DEP_4) | instskip(SKIP_1) | instid1(VALU_DEP_3)
	v_mul_f64_e32 v[2:3], 0.5, v[2:3]
	s_wait_loadcnt 0x0
	v_mul_f64_e32 v[6:7], v[8:9], v[12:13]
	s_delay_alu instid0(VALU_DEP_2) | instskip(SKIP_1) | instid1(VALU_DEP_3)
	v_fma_f64 v[17:18], v[15:16], v[12:13], v[2:3]
	v_fma_f64 v[2:3], v[15:16], v[12:13], -v[2:3]
	v_fma_f64 v[12:13], v[0:1], 0.5, v[6:7]
	v_fma_f64 v[0:1], v[0:1], 0.5, -v[6:7]
	s_delay_alu instid0(VALU_DEP_4) | instskip(NEXT) | instid1(VALU_DEP_4)
	v_fma_f64 v[6:7], -v[10:11], v[8:9], v[17:18]
	v_fma_f64 v[2:3], -v[10:11], v[8:9], v[2:3]
	s_delay_alu instid0(VALU_DEP_4) | instskip(NEXT) | instid1(VALU_DEP_4)
	v_fma_f64 v[8:9], v[15:16], v[10:11], v[12:13]
	v_fma_f64 v[0:1], -v[15:16], v[10:11], v[0:1]
	v_add_nc_u32_e32 v10, 0x2000, v124
	ds_store_2addr_b64 v10, v[8:9], v[6:7] offset0:120 offset1:121
	ds_store_b128 v14, v[0:3] offset:13728
	global_wb scope:SCOPE_SE
	s_wait_dscnt 0x0
	s_barrier_signal -1
	s_barrier_wait -1
	global_inv scope:SCOPE_SE
	s_and_saveexec_b32 s0, vcc_lo
	s_cbranch_execz .LBB0_24
; %bb.22:
	ds_load_b128 v[6:9], v124
	ds_load_b128 v[10:13], v124 offset:2288
	ds_load_b128 v[14:17], v124 offset:4576
	;; [unrolled: 1-line block ×9, first 2 shown]
	v_add_co_u32 v0, vcc_lo, s8, v66
	s_wait_alu 0xfffd
	v_add_co_ci_u32_e32 v1, vcc_lo, s9, v67, vcc_lo
	s_delay_alu instid0(VALU_DEP_2) | instskip(SKIP_1) | instid1(VALU_DEP_2)
	v_add_co_u32 v2, vcc_lo, v0, v4
	s_wait_alu 0xfffd
	v_add_co_ci_u32_e32 v3, vcc_lo, v1, v5, vcc_lo
	v_cmp_eq_u32_e32 vcc_lo, 0x8e, v64
	s_wait_dscnt 0x9
	global_store_b128 v[2:3], v[6:9], off
	s_wait_dscnt 0x8
	global_store_b128 v[2:3], v[10:13], off offset:2288
	s_wait_dscnt 0x7
	global_store_b128 v[2:3], v[14:17], off offset:4576
	;; [unrolled: 2-line block ×9, first 2 shown]
	s_and_b32 exec_lo, exec_lo, vcc_lo
	s_cbranch_execz .LBB0_24
; %bb.23:
	v_mov_b32_e32 v2, 0
	ds_load_b128 v[2:5], v2 offset:22880
	s_wait_dscnt 0x0
	global_store_b128 v[0:1], v[2:5], off offset:22880
.LBB0_24:
	s_nop 0
	s_sendmsg sendmsg(MSG_DEALLOC_VGPRS)
	s_endpgm
	.section	.rodata,"a",@progbits
	.p2align	6, 0x0
	.amdhsa_kernel fft_rtc_fwd_len1430_factors_13_11_10_wgs_143_tpt_143_dp_ip_CI_unitstride_sbrr_R2C_dirReg
		.amdhsa_group_segment_fixed_size 0
		.amdhsa_private_segment_fixed_size 0
		.amdhsa_kernarg_size 88
		.amdhsa_user_sgpr_count 2
		.amdhsa_user_sgpr_dispatch_ptr 0
		.amdhsa_user_sgpr_queue_ptr 0
		.amdhsa_user_sgpr_kernarg_segment_ptr 1
		.amdhsa_user_sgpr_dispatch_id 0
		.amdhsa_user_sgpr_private_segment_size 0
		.amdhsa_wavefront_size32 1
		.amdhsa_uses_dynamic_stack 0
		.amdhsa_enable_private_segment 0
		.amdhsa_system_sgpr_workgroup_id_x 1
		.amdhsa_system_sgpr_workgroup_id_y 0
		.amdhsa_system_sgpr_workgroup_id_z 0
		.amdhsa_system_sgpr_workgroup_info 0
		.amdhsa_system_vgpr_workitem_id 0
		.amdhsa_next_free_vgpr 195
		.amdhsa_next_free_sgpr 42
		.amdhsa_reserve_vcc 1
		.amdhsa_float_round_mode_32 0
		.amdhsa_float_round_mode_16_64 0
		.amdhsa_float_denorm_mode_32 3
		.amdhsa_float_denorm_mode_16_64 3
		.amdhsa_fp16_overflow 0
		.amdhsa_workgroup_processor_mode 1
		.amdhsa_memory_ordered 1
		.amdhsa_forward_progress 0
		.amdhsa_round_robin_scheduling 0
		.amdhsa_exception_fp_ieee_invalid_op 0
		.amdhsa_exception_fp_denorm_src 0
		.amdhsa_exception_fp_ieee_div_zero 0
		.amdhsa_exception_fp_ieee_overflow 0
		.amdhsa_exception_fp_ieee_underflow 0
		.amdhsa_exception_fp_ieee_inexact 0
		.amdhsa_exception_int_div_zero 0
	.end_amdhsa_kernel
	.text
.Lfunc_end0:
	.size	fft_rtc_fwd_len1430_factors_13_11_10_wgs_143_tpt_143_dp_ip_CI_unitstride_sbrr_R2C_dirReg, .Lfunc_end0-fft_rtc_fwd_len1430_factors_13_11_10_wgs_143_tpt_143_dp_ip_CI_unitstride_sbrr_R2C_dirReg
                                        ; -- End function
	.section	.AMDGPU.csdata,"",@progbits
; Kernel info:
; codeLenInByte = 10364
; NumSgprs: 44
; NumVgprs: 195
; ScratchSize: 0
; MemoryBound: 0
; FloatMode: 240
; IeeeMode: 1
; LDSByteSize: 0 bytes/workgroup (compile time only)
; SGPRBlocks: 5
; VGPRBlocks: 24
; NumSGPRsForWavesPerEU: 44
; NumVGPRsForWavesPerEU: 195
; Occupancy: 7
; WaveLimiterHint : 1
; COMPUTE_PGM_RSRC2:SCRATCH_EN: 0
; COMPUTE_PGM_RSRC2:USER_SGPR: 2
; COMPUTE_PGM_RSRC2:TRAP_HANDLER: 0
; COMPUTE_PGM_RSRC2:TGID_X_EN: 1
; COMPUTE_PGM_RSRC2:TGID_Y_EN: 0
; COMPUTE_PGM_RSRC2:TGID_Z_EN: 0
; COMPUTE_PGM_RSRC2:TIDIG_COMP_CNT: 0
	.text
	.p2alignl 7, 3214868480
	.fill 96, 4, 3214868480
	.type	__hip_cuid_54a38037fa31b48f,@object ; @__hip_cuid_54a38037fa31b48f
	.section	.bss,"aw",@nobits
	.globl	__hip_cuid_54a38037fa31b48f
__hip_cuid_54a38037fa31b48f:
	.byte	0                               ; 0x0
	.size	__hip_cuid_54a38037fa31b48f, 1

	.ident	"AMD clang version 19.0.0git (https://github.com/RadeonOpenCompute/llvm-project roc-6.4.0 25133 c7fe45cf4b819c5991fe208aaa96edf142730f1d)"
	.section	".note.GNU-stack","",@progbits
	.addrsig
	.addrsig_sym __hip_cuid_54a38037fa31b48f
	.amdgpu_metadata
---
amdhsa.kernels:
  - .args:
      - .actual_access:  read_only
        .address_space:  global
        .offset:         0
        .size:           8
        .value_kind:     global_buffer
      - .offset:         8
        .size:           8
        .value_kind:     by_value
      - .actual_access:  read_only
        .address_space:  global
        .offset:         16
        .size:           8
        .value_kind:     global_buffer
      - .actual_access:  read_only
        .address_space:  global
        .offset:         24
        .size:           8
        .value_kind:     global_buffer
      - .offset:         32
        .size:           8
        .value_kind:     by_value
      - .actual_access:  read_only
        .address_space:  global
        .offset:         40
        .size:           8
        .value_kind:     global_buffer
      - .actual_access:  read_only
        .address_space:  global
        .offset:         48
        .size:           8
        .value_kind:     global_buffer
      - .offset:         56
        .size:           4
        .value_kind:     by_value
      - .actual_access:  read_only
        .address_space:  global
        .offset:         64
        .size:           8
        .value_kind:     global_buffer
      - .actual_access:  read_only
        .address_space:  global
        .offset:         72
        .size:           8
        .value_kind:     global_buffer
      - .address_space:  global
        .offset:         80
        .size:           8
        .value_kind:     global_buffer
    .group_segment_fixed_size: 0
    .kernarg_segment_align: 8
    .kernarg_segment_size: 88
    .language:       OpenCL C
    .language_version:
      - 2
      - 0
    .max_flat_workgroup_size: 143
    .name:           fft_rtc_fwd_len1430_factors_13_11_10_wgs_143_tpt_143_dp_ip_CI_unitstride_sbrr_R2C_dirReg
    .private_segment_fixed_size: 0
    .sgpr_count:     44
    .sgpr_spill_count: 0
    .symbol:         fft_rtc_fwd_len1430_factors_13_11_10_wgs_143_tpt_143_dp_ip_CI_unitstride_sbrr_R2C_dirReg.kd
    .uniform_work_group_size: 1
    .uses_dynamic_stack: false
    .vgpr_count:     195
    .vgpr_spill_count: 0
    .wavefront_size: 32
    .workgroup_processor_mode: 1
amdhsa.target:   amdgcn-amd-amdhsa--gfx1201
amdhsa.version:
  - 1
  - 2
...

	.end_amdgpu_metadata
